;; amdgpu-corpus repo=ROCm/rocFFT kind=compiled arch=gfx1030 opt=O3
	.text
	.amdgcn_target "amdgcn-amd-amdhsa--gfx1030"
	.amdhsa_code_object_version 6
	.protected	fft_rtc_fwd_len408_factors_17_3_8_wgs_51_tpt_17_halfLds_dp_ip_CI_unitstride_sbrr_dirReg ; -- Begin function fft_rtc_fwd_len408_factors_17_3_8_wgs_51_tpt_17_halfLds_dp_ip_CI_unitstride_sbrr_dirReg
	.globl	fft_rtc_fwd_len408_factors_17_3_8_wgs_51_tpt_17_halfLds_dp_ip_CI_unitstride_sbrr_dirReg
	.p2align	8
	.type	fft_rtc_fwd_len408_factors_17_3_8_wgs_51_tpt_17_halfLds_dp_ip_CI_unitstride_sbrr_dirReg,@function
fft_rtc_fwd_len408_factors_17_3_8_wgs_51_tpt_17_halfLds_dp_ip_CI_unitstride_sbrr_dirReg: ; @fft_rtc_fwd_len408_factors_17_3_8_wgs_51_tpt_17_halfLds_dp_ip_CI_unitstride_sbrr_dirReg
; %bb.0:
	s_load_dwordx4 s[8:11], s[4:5], 0x0
	v_mul_u32_u24_e32 v1, 0xf10, v0
	s_clause 0x1
	s_load_dwordx2 s[2:3], s[4:5], 0x50
	s_load_dwordx2 s[12:13], s[4:5], 0x18
	v_lshrrev_b32_e32 v2, 16, v1
	v_mov_b32_e32 v1, 0
	v_mad_u64_u32 v[140:141], null, s6, 3, v[2:3]
	v_mov_b32_e32 v141, v1
	v_mov_b32_e32 v3, 0
	;; [unrolled: 1-line block ×4, first 2 shown]
	s_waitcnt lgkmcnt(0)
	v_cmp_lt_u64_e64 s0, s[10:11], 2
	v_mov_b32_e32 v8, v141
	s_and_b32 vcc_lo, exec_lo, s0
	s_cbranch_vccnz .LBB0_8
; %bb.1:
	s_load_dwordx2 s[0:1], s[4:5], 0x10
	v_mov_b32_e32 v3, 0
	v_mov_b32_e32 v5, v140
	s_add_u32 s6, s12, 8
	v_mov_b32_e32 v4, 0
	v_mov_b32_e32 v6, v141
	s_addc_u32 s7, s13, 0
	s_mov_b64 s[16:17], 1
	s_waitcnt lgkmcnt(0)
	s_add_u32 s14, s0, 8
	s_addc_u32 s15, s1, 0
.LBB0_2:                                ; =>This Inner Loop Header: Depth=1
	s_load_dwordx2 s[18:19], s[14:15], 0x0
                                        ; implicit-def: $vgpr7_vgpr8
	s_mov_b32 s0, exec_lo
	s_waitcnt lgkmcnt(0)
	v_or_b32_e32 v2, s19, v6
	v_cmpx_ne_u64_e32 0, v[1:2]
	s_xor_b32 s1, exec_lo, s0
	s_cbranch_execz .LBB0_4
; %bb.3:                                ;   in Loop: Header=BB0_2 Depth=1
	v_cvt_f32_u32_e32 v2, s18
	v_cvt_f32_u32_e32 v7, s19
	s_sub_u32 s0, 0, s18
	s_subb_u32 s20, 0, s19
	v_fmac_f32_e32 v2, 0x4f800000, v7
	v_rcp_f32_e32 v2, v2
	v_mul_f32_e32 v2, 0x5f7ffffc, v2
	v_mul_f32_e32 v7, 0x2f800000, v2
	v_trunc_f32_e32 v7, v7
	v_fmac_f32_e32 v2, 0xcf800000, v7
	v_cvt_u32_f32_e32 v7, v7
	v_cvt_u32_f32_e32 v2, v2
	v_mul_lo_u32 v8, s0, v7
	v_mul_hi_u32 v9, s0, v2
	v_mul_lo_u32 v10, s20, v2
	v_add_nc_u32_e32 v8, v9, v8
	v_mul_lo_u32 v9, s0, v2
	v_add_nc_u32_e32 v8, v8, v10
	v_mul_hi_u32 v10, v2, v9
	v_mul_lo_u32 v11, v2, v8
	v_mul_hi_u32 v12, v2, v8
	v_mul_hi_u32 v13, v7, v9
	v_mul_lo_u32 v9, v7, v9
	v_mul_hi_u32 v14, v7, v8
	v_mul_lo_u32 v8, v7, v8
	v_add_co_u32 v10, vcc_lo, v10, v11
	v_add_co_ci_u32_e32 v11, vcc_lo, 0, v12, vcc_lo
	v_add_co_u32 v9, vcc_lo, v10, v9
	v_add_co_ci_u32_e32 v9, vcc_lo, v11, v13, vcc_lo
	v_add_co_ci_u32_e32 v10, vcc_lo, 0, v14, vcc_lo
	v_add_co_u32 v8, vcc_lo, v9, v8
	v_add_co_ci_u32_e32 v9, vcc_lo, 0, v10, vcc_lo
	v_add_co_u32 v2, vcc_lo, v2, v8
	v_add_co_ci_u32_e32 v7, vcc_lo, v7, v9, vcc_lo
	v_mul_hi_u32 v8, s0, v2
	v_mul_lo_u32 v10, s20, v2
	v_mul_lo_u32 v9, s0, v7
	v_add_nc_u32_e32 v8, v8, v9
	v_mul_lo_u32 v9, s0, v2
	v_add_nc_u32_e32 v8, v8, v10
	v_mul_hi_u32 v10, v2, v9
	v_mul_lo_u32 v11, v2, v8
	v_mul_hi_u32 v12, v2, v8
	v_mul_hi_u32 v13, v7, v9
	v_mul_lo_u32 v9, v7, v9
	v_mul_hi_u32 v14, v7, v8
	v_mul_lo_u32 v8, v7, v8
	v_add_co_u32 v10, vcc_lo, v10, v11
	v_add_co_ci_u32_e32 v11, vcc_lo, 0, v12, vcc_lo
	v_add_co_u32 v9, vcc_lo, v10, v9
	v_add_co_ci_u32_e32 v9, vcc_lo, v11, v13, vcc_lo
	v_add_co_ci_u32_e32 v10, vcc_lo, 0, v14, vcc_lo
	v_add_co_u32 v8, vcc_lo, v9, v8
	v_add_co_ci_u32_e32 v9, vcc_lo, 0, v10, vcc_lo
	v_add_co_u32 v2, vcc_lo, v2, v8
	v_add_co_ci_u32_e32 v11, vcc_lo, v7, v9, vcc_lo
	v_mul_hi_u32 v13, v5, v2
	v_mad_u64_u32 v[9:10], null, v6, v2, 0
	v_mad_u64_u32 v[7:8], null, v5, v11, 0
	v_mad_u64_u32 v[11:12], null, v6, v11, 0
	v_add_co_u32 v2, vcc_lo, v13, v7
	v_add_co_ci_u32_e32 v7, vcc_lo, 0, v8, vcc_lo
	v_add_co_u32 v2, vcc_lo, v2, v9
	v_add_co_ci_u32_e32 v2, vcc_lo, v7, v10, vcc_lo
	v_add_co_ci_u32_e32 v7, vcc_lo, 0, v12, vcc_lo
	v_add_co_u32 v2, vcc_lo, v2, v11
	v_add_co_ci_u32_e32 v9, vcc_lo, 0, v7, vcc_lo
	v_mul_lo_u32 v10, s19, v2
	v_mad_u64_u32 v[7:8], null, s18, v2, 0
	v_mul_lo_u32 v11, s18, v9
	v_sub_co_u32 v7, vcc_lo, v5, v7
	v_add3_u32 v8, v8, v11, v10
	v_sub_nc_u32_e32 v10, v6, v8
	v_subrev_co_ci_u32_e64 v10, s0, s19, v10, vcc_lo
	v_add_co_u32 v11, s0, v2, 2
	v_add_co_ci_u32_e64 v12, s0, 0, v9, s0
	v_sub_co_u32 v13, s0, v7, s18
	v_sub_co_ci_u32_e32 v8, vcc_lo, v6, v8, vcc_lo
	v_subrev_co_ci_u32_e64 v10, s0, 0, v10, s0
	v_cmp_le_u32_e32 vcc_lo, s18, v13
	v_cmp_eq_u32_e64 s0, s19, v8
	v_cndmask_b32_e64 v13, 0, -1, vcc_lo
	v_cmp_le_u32_e32 vcc_lo, s19, v10
	v_cndmask_b32_e64 v14, 0, -1, vcc_lo
	v_cmp_le_u32_e32 vcc_lo, s18, v7
	;; [unrolled: 2-line block ×3, first 2 shown]
	v_cndmask_b32_e64 v15, 0, -1, vcc_lo
	v_cmp_eq_u32_e32 vcc_lo, s19, v10
	v_cndmask_b32_e64 v7, v15, v7, s0
	v_cndmask_b32_e32 v10, v14, v13, vcc_lo
	v_add_co_u32 v13, vcc_lo, v2, 1
	v_add_co_ci_u32_e32 v14, vcc_lo, 0, v9, vcc_lo
	v_cmp_ne_u32_e32 vcc_lo, 0, v10
	v_cndmask_b32_e32 v8, v14, v12, vcc_lo
	v_cndmask_b32_e32 v10, v13, v11, vcc_lo
	v_cmp_ne_u32_e32 vcc_lo, 0, v7
	v_cndmask_b32_e32 v8, v9, v8, vcc_lo
	v_cndmask_b32_e32 v7, v2, v10, vcc_lo
.LBB0_4:                                ;   in Loop: Header=BB0_2 Depth=1
	s_andn2_saveexec_b32 s0, s1
	s_cbranch_execz .LBB0_6
; %bb.5:                                ;   in Loop: Header=BB0_2 Depth=1
	v_cvt_f32_u32_e32 v2, s18
	s_sub_i32 s1, 0, s18
	v_rcp_iflag_f32_e32 v2, v2
	v_mul_f32_e32 v2, 0x4f7ffffe, v2
	v_cvt_u32_f32_e32 v2, v2
	v_mul_lo_u32 v7, s1, v2
	v_mul_hi_u32 v7, v2, v7
	v_add_nc_u32_e32 v2, v2, v7
	v_mul_hi_u32 v2, v5, v2
	v_mul_lo_u32 v7, v2, s18
	v_add_nc_u32_e32 v8, 1, v2
	v_sub_nc_u32_e32 v7, v5, v7
	v_subrev_nc_u32_e32 v9, s18, v7
	v_cmp_le_u32_e32 vcc_lo, s18, v7
	v_cndmask_b32_e32 v7, v7, v9, vcc_lo
	v_cndmask_b32_e32 v2, v2, v8, vcc_lo
	v_cmp_le_u32_e32 vcc_lo, s18, v7
	v_add_nc_u32_e32 v8, 1, v2
	v_cndmask_b32_e32 v7, v2, v8, vcc_lo
	v_mov_b32_e32 v8, v1
.LBB0_6:                                ;   in Loop: Header=BB0_2 Depth=1
	s_or_b32 exec_lo, exec_lo, s0
	s_load_dwordx2 s[0:1], s[6:7], 0x0
	v_mul_lo_u32 v2, v8, s18
	v_mul_lo_u32 v11, v7, s19
	v_mad_u64_u32 v[9:10], null, v7, s18, 0
	s_add_u32 s16, s16, 1
	s_addc_u32 s17, s17, 0
	s_add_u32 s6, s6, 8
	s_addc_u32 s7, s7, 0
	;; [unrolled: 2-line block ×3, first 2 shown]
	v_add3_u32 v2, v10, v11, v2
	v_sub_co_u32 v5, vcc_lo, v5, v9
	v_sub_co_ci_u32_e32 v2, vcc_lo, v6, v2, vcc_lo
	s_waitcnt lgkmcnt(0)
	v_mul_lo_u32 v6, s1, v5
	v_mul_lo_u32 v2, s0, v2
	v_mad_u64_u32 v[3:4], null, s0, v5, v[3:4]
	v_cmp_ge_u64_e64 s0, s[16:17], s[10:11]
	s_and_b32 vcc_lo, exec_lo, s0
	v_add3_u32 v4, v6, v4, v2
	s_cbranch_vccnz .LBB0_8
; %bb.7:                                ;   in Loop: Header=BB0_2 Depth=1
	v_mov_b32_e32 v5, v7
	v_mov_b32_e32 v6, v8
	s_branch .LBB0_2
.LBB0_8:
	s_lshl_b64 s[0:1], s[10:11], 3
                                        ; implicit-def: $vgpr110_vgpr111
                                        ; implicit-def: $vgpr102_vgpr103
                                        ; implicit-def: $vgpr94_vgpr95
                                        ; implicit-def: $vgpr78_vgpr79
                                        ; implicit-def: $vgpr70_vgpr71
                                        ; implicit-def: $vgpr86_vgpr87
                                        ; implicit-def: $vgpr106_vgpr107
                                        ; implicit-def: $vgpr118_vgpr119
                                        ; implicit-def: $vgpr14_vgpr15
                                        ; implicit-def: $vgpr22_vgpr23
                                        ; implicit-def: $vgpr42_vgpr43
                                        ; implicit-def: $vgpr54_vgpr55
                                        ; implicit-def: $vgpr58_vgpr59
                                        ; implicit-def: $vgpr62_vgpr63
                                        ; implicit-def: $vgpr66_vgpr67
                                        ; implicit-def: $vgpr50_vgpr51
                                        ; implicit-def: $vgpr46_vgpr47
                                        ; implicit-def: $vgpr38_vgpr39
                                        ; implicit-def: $vgpr34_vgpr35
                                        ; implicit-def: $vgpr30_vgpr31
                                        ; implicit-def: $vgpr26_vgpr27
                                        ; implicit-def: $vgpr18_vgpr19
                                        ; implicit-def: $vgpr10_vgpr11
                                        ; implicit-def: $vgpr134_vgpr135
                                        ; implicit-def: $vgpr130_vgpr131
                                        ; implicit-def: $vgpr114_vgpr115
                                        ; implicit-def: $vgpr90_vgpr91
                                        ; implicit-def: $vgpr74_vgpr75
                                        ; implicit-def: $vgpr82_vgpr83
                                        ; implicit-def: $vgpr98_vgpr99
                                        ; implicit-def: $vgpr126_vgpr127
                                        ; implicit-def: $vgpr122_vgpr123
	s_add_u32 s0, s12, s0
	s_addc_u32 s1, s13, s1
	s_load_dwordx2 s[0:1], s[0:1], 0x0
	s_load_dwordx2 s[4:5], s[4:5], 0x20
	s_waitcnt lgkmcnt(0)
	v_mul_lo_u32 v5, s0, v8
	v_mul_lo_u32 v6, s1, v7
	v_mad_u64_u32 v[1:2], null, s0, v7, v[3:4]
	v_mul_hi_u32 v3, 0xf0f0f10, v0
	v_cmp_gt_u64_e32 vcc_lo, s[4:5], v[7:8]
	v_add3_u32 v2, v6, v2, v5
                                        ; implicit-def: $vgpr6_vgpr7
	v_mul_u32_u24_e32 v3, 17, v3
	v_lshlrev_b64 v[138:139], 4, v[1:2]
	v_sub_nc_u32_e32 v136, v0, v3
                                        ; implicit-def: $vgpr2_vgpr3
	s_and_saveexec_b32 s1, vcc_lo
	s_cbranch_execz .LBB0_12
; %bb.9:
	v_mov_b32_e32 v137, 0
	v_add_co_u32 v6, s0, s2, v138
	v_add_co_ci_u32_e64 v7, s0, s3, v139, s0
	v_lshlrev_b64 v[0:1], 4, v[136:137]
	v_or_b32_e32 v2, 0x120, v136
	v_mov_b32_e32 v3, v137
	v_or_b32_e32 v4, 0x180, v136
	v_mov_b32_e32 v5, v137
	s_mov_b32 s4, exec_lo
	v_add_co_u32 v42, s0, v6, v0
	v_add_co_ci_u32_e64 v43, s0, v7, v1, s0
	v_or_b32_e32 v0, 0xc0, v136
	v_mov_b32_e32 v1, v137
	v_add_co_u32 v38, s0, 0x800, v42
	v_add_co_ci_u32_e64 v39, s0, 0, v43, s0
	v_lshlrev_b64 v[0:1], 4, v[0:1]
	v_lshlrev_b64 v[2:3], 4, v[2:3]
	s_clause 0x7
	global_load_dwordx4 v[120:123], v[42:43], off
	global_load_dwordx4 v[108:111], v[42:43], off offset:384
	global_load_dwordx4 v[124:127], v[42:43], off offset:768
	;; [unrolled: 1-line block ×7, first 2 shown]
                                        ; implicit-def: $vgpr8_vgpr9
                                        ; implicit-def: $vgpr16_vgpr17
                                        ; implicit-def: $vgpr24_vgpr25
                                        ; implicit-def: $vgpr28_vgpr29
                                        ; implicit-def: $vgpr32_vgpr33
                                        ; implicit-def: $vgpr36_vgpr37
                                        ; implicit-def: $vgpr44_vgpr45
                                        ; implicit-def: $vgpr48_vgpr49
                                        ; implicit-def: $vgpr64_vgpr65
                                        ; implicit-def: $vgpr60_vgpr61
                                        ; implicit-def: $vgpr56_vgpr57
                                        ; implicit-def: $vgpr52_vgpr53
                                        ; implicit-def: $vgpr40_vgpr41
                                        ; implicit-def: $vgpr20_vgpr21
                                        ; implicit-def: $vgpr12_vgpr13
	v_add_co_u32 v0, s0, v6, v0
	v_add_co_ci_u32_e64 v1, s0, v7, v1, s0
	v_add_co_u32 v54, s0, 0x1000, v42
	v_add_co_ci_u32_e64 v55, s0, 0, v43, s0
	s_clause 0x3
	global_load_dwordx4 v[68:71], v[38:39], off offset:1408
	global_load_dwordx4 v[88:91], v[38:39], off offset:1792
	global_load_dwordx4 v[72:75], v[0:1], off
	global_load_dwordx4 v[84:87], v[54:55], off offset:128
	v_lshlrev_b64 v[0:1], 4, v[4:5]
	v_add_co_u32 v2, s0, v6, v2
	v_add_co_ci_u32_e64 v3, s0, v7, v3, s0
                                        ; implicit-def: $vgpr4_vgpr5
	v_add_co_u32 v0, s0, v6, v0
	v_add_co_ci_u32_e64 v1, s0, v7, v1, s0
	s_clause 0x4
	global_load_dwordx4 v[112:115], v[54:55], off offset:896
	global_load_dwordx4 v[116:119], v[54:55], off offset:1280
	global_load_dwordx4 v[104:107], v[2:3], off
	global_load_dwordx4 v[128:131], v[54:55], off offset:1664
	global_load_dwordx4 v[132:135], v[0:1], off
                                        ; implicit-def: $vgpr0_vgpr1
	v_cmpx_gt_u32_e32 7, v136
; %bb.10:
	s_clause 0xb
	global_load_dwordx4 v[0:3], v[42:43], off offset:272
	global_load_dwordx4 v[8:11], v[42:43], off offset:656
	;; [unrolled: 1-line block ×12, first 2 shown]
	v_add_co_u32 v40, s0, 0x1800, v42
	v_add_co_ci_u32_e64 v41, s0, 0, v43, s0
	s_clause 0x4
	global_load_dwordx4 v[64:67], v[54:55], off offset:784
	global_load_dwordx4 v[60:63], v[54:55], off offset:1168
	;; [unrolled: 1-line block ×5, first 2 shown]
; %bb.11:
	s_or_b32 exec_lo, exec_lo, s4
.LBB0_12:
	s_or_b32 exec_lo, exec_lo, s1
	s_waitcnt vmcnt(15)
	v_add_f64 v[141:142], v[108:109], v[120:121]
	s_waitcnt vmcnt(0)
	v_add_f64 v[143:144], v[108:109], v[132:133]
	s_mov_b32 s6, 0x370991
	s_mov_b32 s4, 0x75d4884
	;; [unrolled: 1-line block ×8, first 2 shown]
	v_add_f64 v[145:146], v[110:111], -v[134:135]
	v_add_f64 v[147:148], v[128:129], v[124:125]
	v_mul_hi_u32 v137, 0xaaaaaaab, v140
	s_mov_b32 s14, 0x5d8e7cdc
	s_mov_b32 s12, 0x2a9d6da3
	;; [unrolled: 1-line block ×7, first 2 shown]
	v_lshrrev_b32_e32 v137, 1, v137
	s_mov_b32 s36, 0x7faef3
	v_add_f64 v[141:142], v[124:125], v[141:142]
	v_mul_f64 v[157:158], v[143:144], s[6:7]
	v_mul_f64 v[159:160], v[143:144], s[4:5]
	;; [unrolled: 1-line block ×4, first 2 shown]
	v_lshl_add_u32 v137, v137, 1, v137
	s_mov_b32 s15, 0x3fd71e95
	s_mov_b32 s41, 0xbfd71e95
	;; [unrolled: 1-line block ×16, first 2 shown]
	v_add_f64 v[141:142], v[100:101], v[141:142]
	v_add_f64 v[149:150], v[126:127], -v[130:131]
	v_add_f64 v[151:152], v[100:101], v[116:117]
	v_sub_nc_u32_e32 v137, v140, v137
	v_mul_f64 v[163:164], v[143:144], s[16:17]
	v_mul_f64 v[165:166], v[147:148], s[4:5]
	;; [unrolled: 1-line block ×11, first 2 shown]
	v_fma_f64 v[199:200], v[145:146], s[14:15], v[157:158]
	v_fma_f64 v[157:158], v[145:146], s[40:41], v[157:158]
	;; [unrolled: 1-line block ×7, first 2 shown]
	v_add_f64 v[140:141], v[92:93], v[141:142]
	v_mul_f64 v[142:143], v[143:144], s[36:37]
	v_fma_f64 v[167:168], v[145:146], s[24:25], v[167:168]
	s_mov_b32 s20, 0xeb564b22
	s_mov_b32 s46, 0x6c9a05f6
	;; [unrolled: 1-line block ×16, first 2 shown]
	v_add_f64 v[153:154], v[102:103], -v[118:119]
	v_mul_f64 v[185:186], v[151:152], s[10:11]
	v_mul_f64 v[187:188], v[151:152], s[26:27]
	;; [unrolled: 1-line block ×3, first 2 shown]
	v_add_f64 v[140:141], v[96:97], v[140:141]
	v_fma_f64 v[205:206], v[145:146], s[20:21], v[163:164]
	v_fma_f64 v[207:208], v[149:150], s[12:13], v[165:166]
	;; [unrolled: 1-line block ×23, first 2 shown]
	v_add_f64 v[199:200], v[199:200], v[120:121]
	v_fma_f64 v[146:147], v[149:150], s[14:15], v[147:148]
	v_add_f64 v[148:149], v[157:158], v[120:121]
	v_add_f64 v[157:158], v[201:202], v[120:121]
	;; [unrolled: 1-line block ×7, first 2 shown]
	v_mul_f64 v[191:192], v[151:152], s[22:23]
	v_mul_f64 v[193:194], v[151:152], s[4:5]
	v_mul_f64 v[195:196], v[151:152], s[6:7]
	v_mul_f64 v[197:198], v[151:152], s[16:17]
	v_add_f64 v[140:141], v[76:77], v[140:141]
	v_add_f64 v[203:204], v[205:206], v[120:121]
	;; [unrolled: 1-line block ×7, first 2 shown]
	v_fma_f64 v[213:214], v[153:154], s[18:19], v[185:186]
	v_add_f64 v[171:172], v[171:172], v[120:121]
	v_fma_f64 v[185:186], v[153:154], s[50:51], v[185:186]
	v_add_f64 v[215:216], v[215:216], v[120:121]
	;; [unrolled: 2-line block ×5, first 2 shown]
	v_add_f64 v[144:145], v[144:145], v[157:158]
	v_add_f64 v[157:158], v[173:174], v[159:160]
	;; [unrolled: 1-line block ×5, first 2 shown]
	v_mul_f64 v[150:151], v[151:152], s[30:31]
	v_fma_f64 v[179:180], v[153:154], s[54:55], v[189:190]
	v_add_f64 v[140:141], v[80:81], v[140:141]
	v_add_f64 v[165:166], v[219:220], v[203:204]
	;; [unrolled: 1-line block ×8, first 2 shown]
	v_fma_f64 v[183:184], v[153:154], s[24:25], v[191:192]
	v_fma_f64 v[189:190], v[153:154], s[42:43], v[193:194]
	v_add_f64 v[120:121], v[146:147], v[120:121]
	v_fma_f64 v[146:147], v[153:154], s[48:49], v[191:192]
	v_add_f64 v[191:192], v[94:95], -v[114:115]
	v_mul_f64 v[201:202], v[155:156], s[16:17]
	v_fma_f64 v[193:194], v[153:154], s[12:13], v[193:194]
	v_fma_f64 v[203:204], v[153:154], s[14:15], v[195:196]
	;; [unrolled: 1-line block ×3, first 2 shown]
	v_add_f64 v[148:149], v[185:186], v[148:149]
	v_mul_f64 v[185:186], v[155:156], s[36:37]
	v_add_f64 v[142:143], v[142:143], v[157:158]
	v_mul_f64 v[157:158], v[155:156], s[22:23]
	v_fma_f64 v[205:206], v[153:154], s[20:21], v[197:198]
	v_add_f64 v[159:160], v[199:200], v[159:160]
	v_fma_f64 v[197:198], v[153:154], s[44:45], v[197:198]
	v_fma_f64 v[199:200], v[153:154], s[52:53], v[150:151]
	v_mul_f64 v[207:208], v[155:156], s[6:7]
	v_add_f64 v[161:162], v[179:180], v[161:162]
	v_add_f64 v[179:180], v[104:105], v[96:97]
	v_fma_f64 v[150:151], v[153:154], s[34:35], v[150:151]
	v_add_f64 v[140:141], v[72:73], v[140:141]
	v_add_f64 v[181:182], v[227:228], v[215:216]
	;; [unrolled: 1-line block ×6, first 2 shown]
	v_mul_f64 v[152:153], v[155:156], s[10:11]
	v_add_f64 v[163:164], v[189:190], v[173:174]
	v_fma_f64 v[173:174], v[191:192], s[20:21], v[201:202]
	v_add_f64 v[167:168], v[193:194], v[167:168]
	v_add_f64 v[175:176], v[203:204], v[175:176]
	v_fma_f64 v[183:184], v[191:192], s[44:45], v[201:202]
	v_mul_f64 v[189:190], v[155:156], s[30:31]
	v_fma_f64 v[193:194], v[191:192], s[54:55], v[185:186]
	v_fma_f64 v[185:186], v[191:192], s[38:39], v[185:186]
	v_add_f64 v[169:170], v[195:196], v[169:170]
	v_fma_f64 v[195:196], v[191:192], s[24:25], v[157:158]
	v_add_f64 v[177:178], v[205:206], v[177:178]
	v_mul_f64 v[201:202], v[155:156], s[26:27]
	v_add_f64 v[171:172], v[197:198], v[171:172]
	v_fma_f64 v[157:158], v[191:192], s[48:49], v[157:158]
	v_mul_f64 v[154:155], v[155:156], s[4:5]
	v_fma_f64 v[197:198], v[191:192], s[40:41], v[207:208]
	v_add_f64 v[203:204], v[98:99], -v[106:107]
	v_mul_f64 v[205:206], v[179:180], s[22:23]
	v_add_f64 v[120:121], v[150:151], v[120:121]
	v_fma_f64 v[150:151], v[191:192], s[14:15], v[207:208]
	v_add_f64 v[140:141], v[68:69], v[140:141]
	v_add_f64 v[181:182], v[199:200], v[181:182]
	v_fma_f64 v[199:200], v[191:192], s[18:19], v[152:153]
	v_add_f64 v[173:174], v[173:174], v[187:188]
	v_mul_f64 v[187:188], v[179:180], s[30:31]
	v_fma_f64 v[152:153], v[191:192], s[50:51], v[152:153]
	v_add_f64 v[148:149], v[183:184], v[148:149]
	v_fma_f64 v[183:184], v[191:192], s[52:53], v[189:190]
	v_add_f64 v[144:145], v[193:194], v[144:145]
	v_add_f64 v[142:143], v[185:186], v[142:143]
	v_fma_f64 v[185:186], v[191:192], s[34:35], v[189:190]
	v_add_f64 v[159:160], v[195:196], v[159:160]
	v_mul_f64 v[189:190], v[179:180], s[4:5]
	v_fma_f64 v[193:194], v[191:192], s[28:29], v[201:202]
	v_fma_f64 v[195:196], v[191:192], s[46:47], v[201:202]
	v_add_f64 v[156:157], v[157:158], v[161:162]
	v_fma_f64 v[161:162], v[191:192], s[42:43], v[154:155]
	v_add_f64 v[165:166], v[197:198], v[165:166]
	v_fma_f64 v[154:155], v[191:192], s[12:13], v[154:155]
	v_fma_f64 v[191:192], v[203:204], s[48:49], v[205:206]
	v_mul_f64 v[197:198], v[179:180], s[10:11]
	v_add_f64 v[146:147], v[150:151], v[146:147]
	v_add_f64 v[150:151], v[76:77], v[84:85]
	;; [unrolled: 1-line block ×3, first 2 shown]
	v_fma_f64 v[201:202], v[203:204], s[24:25], v[205:206]
	v_mul_f64 v[205:206], v[179:180], s[36:37]
	v_add_f64 v[163:164], v[199:200], v[163:164]
	v_fma_f64 v[199:200], v[203:204], s[34:35], v[187:188]
	v_mul_f64 v[207:208], v[179:180], s[16:17]
	v_add_f64 v[152:153], v[152:153], v[167:168]
	v_add_f64 v[167:168], v[183:184], v[175:176]
	v_mul_f64 v[175:176], v[179:180], s[6:7]
	v_add_f64 v[169:170], v[185:186], v[169:170]
	v_fma_f64 v[183:184], v[203:204], s[52:53], v[187:188]
	v_fma_f64 v[185:186], v[203:204], s[42:43], v[189:190]
	;; [unrolled: 1-line block ×3, first 2 shown]
	v_mul_f64 v[179:180], v[179:180], s[26:27]
	v_add_f64 v[189:190], v[78:79], -v[86:87]
	v_add_f64 v[177:178], v[193:194], v[177:178]
	v_add_f64 v[171:172], v[195:196], v[171:172]
	;; [unrolled: 1-line block ×4, first 2 shown]
	v_fma_f64 v[173:174], v[203:204], s[18:19], v[197:198]
	v_add_f64 v[161:162], v[161:162], v[181:182]
	v_mul_f64 v[191:192], v[150:151], s[26:27]
	v_add_f64 v[140:141], v[84:85], v[140:141]
	v_fma_f64 v[181:182], v[203:204], s[50:51], v[197:198]
	v_fma_f64 v[193:194], v[203:204], s[54:55], v[205:206]
	v_add_f64 v[148:149], v[201:202], v[148:149]
	v_fma_f64 v[195:196], v[203:204], s[38:39], v[205:206]
	v_fma_f64 v[197:198], v[203:204], s[44:45], v[207:208]
	;; [unrolled: 1-line block ×3, first 2 shown]
	v_mul_f64 v[205:206], v[150:151], s[22:23]
	v_add_f64 v[144:145], v[199:200], v[144:145]
	v_fma_f64 v[199:200], v[203:204], s[14:15], v[175:176]
	v_mul_f64 v[207:208], v[150:151], s[6:7]
	v_add_f64 v[142:143], v[183:184], v[142:143]
	v_add_f64 v[158:159], v[185:186], v[159:160]
	v_fma_f64 v[175:176], v[203:204], s[40:41], v[175:176]
	v_add_f64 v[156:157], v[187:188], v[156:157]
	v_mul_f64 v[183:184], v[150:151], s[30:31]
	v_fma_f64 v[185:186], v[203:204], s[46:47], v[179:180]
	v_fma_f64 v[179:180], v[203:204], s[28:29], v[179:180]
	v_mul_f64 v[187:188], v[150:151], s[16:17]
	v_add_f64 v[203:204], v[88:89], v[80:81]
	v_add_f64 v[165:166], v[173:174], v[165:166]
	v_fma_f64 v[173:174], v[189:190], s[46:47], v[191:192]
	v_add_f64 v[140:141], v[104:105], v[140:141]
	v_add_f64 v[146:147], v[181:182], v[146:147]
	;; [unrolled: 1-line block ×3, first 2 shown]
	v_fma_f64 v[181:182], v[189:190], s[28:29], v[191:192]
	v_add_f64 v[152:153], v[195:196], v[152:153]
	v_add_f64 v[167:168], v[197:198], v[167:168]
	;; [unrolled: 1-line block ×3, first 2 shown]
	v_fma_f64 v[191:192], v[189:190], s[24:25], v[205:206]
	v_mul_f64 v[193:194], v[150:151], s[4:5]
	v_fma_f64 v[195:196], v[189:190], s[48:49], v[205:206]
	v_fma_f64 v[197:198], v[189:190], s[14:15], v[207:208]
	;; [unrolled: 1-line block ×3, first 2 shown]
	v_add_f64 v[177:178], v[199:200], v[177:178]
	v_mul_f64 v[199:200], v[150:151], s[36:37]
	v_add_f64 v[171:172], v[175:176], v[171:172]
	v_fma_f64 v[175:176], v[189:190], s[52:53], v[183:184]
	v_fma_f64 v[183:184], v[189:190], s[34:35], v[183:184]
	v_add_f64 v[160:161], v[185:186], v[161:162]
	v_mul_f64 v[150:151], v[150:151], s[10:11]
	v_add_f64 v[185:186], v[82:83], -v[90:91]
	v_mul_f64 v[205:206], v[203:204], s[30:31]
	v_fma_f64 v[207:208], v[189:190], s[44:45], v[187:188]
	v_mul_f64 v[209:210], v[203:204], s[10:11]
	v_add_f64 v[120:121], v[179:180], v[120:121]
	v_add_f64 v[154:155], v[173:174], v[154:155]
	v_mul_f64 v[173:174], v[203:204], s[16:17]
	v_fma_f64 v[179:180], v[189:190], s[20:21], v[187:188]
	v_add_f64 v[148:149], v[181:182], v[148:149]
	v_add_f64 v[140:141], v[112:113], v[140:141]
	;; [unrolled: 1-line block ×3, first 2 shown]
	v_fma_f64 v[181:182], v[189:190], s[12:13], v[193:194]
	v_add_f64 v[142:143], v[195:196], v[142:143]
	v_add_f64 v[158:159], v[197:198], v[158:159]
	;; [unrolled: 1-line block ×3, first 2 shown]
	v_fma_f64 v[187:188], v[189:190], s[42:43], v[193:194]
	v_fma_f64 v[191:192], v[189:190], s[54:55], v[199:200]
	v_mul_f64 v[193:194], v[203:204], s[26:27]
	v_add_f64 v[165:166], v[175:176], v[165:166]
	v_add_f64 v[146:147], v[183:184], v[146:147]
	v_fma_f64 v[175:176], v[189:190], s[38:39], v[199:200]
	v_fma_f64 v[183:184], v[189:190], s[50:51], v[150:151]
	v_fma_f64 v[150:151], v[189:190], s[18:19], v[150:151]
	v_fma_f64 v[189:190], v[185:186], s[52:53], v[205:206]
	v_fma_f64 v[195:196], v[185:186], s[34:35], v[205:206]
	v_fma_f64 v[197:198], v[185:186], s[50:51], v[209:210]
	v_mul_f64 v[199:200], v[203:204], s[6:7]
	v_add_f64 v[162:163], v[207:208], v[163:164]
	v_mul_f64 v[201:202], v[203:204], s[36:37]
	v_fma_f64 v[205:206], v[185:186], s[18:19], v[209:210]
	v_mul_f64 v[207:208], v[203:204], s[4:5]
	v_fma_f64 v[209:210], v[185:186], s[20:21], v[173:174]
	v_mul_f64 v[203:204], v[203:204], s[22:23]
	v_add_f64 v[152:153], v[179:180], v[152:153]
	v_add_f64 v[179:180], v[68:69], v[72:73]
	v_fma_f64 v[173:174], v[185:186], s[44:45], v[173:174]
	v_add_f64 v[167:168], v[181:182], v[167:168]
	v_add_f64 v[169:170], v[187:188], v[169:170]
	;; [unrolled: 1-line block ×3, first 2 shown]
	v_fma_f64 v[181:182], v[185:186], s[28:29], v[193:194]
	v_add_f64 v[140:141], v[116:117], v[140:141]
	v_fma_f64 v[187:188], v[185:186], s[46:47], v[193:194]
	v_add_f64 v[171:172], v[175:176], v[171:172]
	v_add_f64 v[160:161], v[183:184], v[160:161]
	;; [unrolled: 1-line block ×6, first 2 shown]
	v_fma_f64 v[154:155], v[185:186], s[14:15], v[199:200]
	v_fma_f64 v[175:176], v[185:186], s[40:41], v[199:200]
	;; [unrolled: 1-line block ×8, first 2 shown]
	v_add_f64 v[197:198], v[74:75], -v[70:71]
	v_mul_f64 v[199:200], v[179:180], s[36:37]
	v_add_f64 v[142:143], v[205:206], v[142:143]
	v_mul_f64 v[201:202], v[179:180], s[6:7]
	v_add_f64 v[158:159], v[209:210], v[158:159]
	v_mul_f64 v[205:206], v[179:180], s[4:5]
	v_mul_f64 v[207:208], v[179:180], s[26:27]
	;; [unrolled: 1-line block ×6, first 2 shown]
	v_add_f64 v[156:157], v[173:174], v[156:157]
	v_add_f64 v[164:165], v[181:182], v[165:166]
	;; [unrolled: 1-line block ×12, first 2 shown]
	v_fma_f64 v[172:173], v[197:198], s[54:55], v[199:200]
	v_fma_f64 v[174:175], v[197:198], s[38:39], v[199:200]
	;; [unrolled: 1-line block ×16, first 2 shown]
	v_add_f64 v[140:141], v[132:133], v[140:141]
	v_mul_u32_u24_e32 v137, 0x198, v137
	v_cmp_gt_u32_e64 s0, 7, v136
	v_add_f64 v[150:151], v[172:173], v[150:151]
	v_add_f64 v[148:149], v[174:175], v[148:149]
	;; [unrolled: 1-line block ×16, first 2 shown]
	v_mul_u32_u24_e32 v172, 0x88, v136
	v_lshlrev_b32_e32 v137, 3, v137
	v_add_nc_u32_e32 v198, 17, v136
	v_add3_u32 v200, 0, v172, v137
	v_mul_u32_u24_e32 v199, 0x88, v198
	ds_write2_b64 v200, v[140:141], v[150:151] offset1:1
	ds_write2_b64 v200, v[144:145], v[158:159] offset0:2 offset1:3
	ds_write2_b64 v200, v[164:165], v[154:155] offset0:4 offset1:5
	;; [unrolled: 1-line block ×7, first 2 shown]
	ds_write_b64 v200, v[148:149] offset:128
	s_and_saveexec_b32 s1, s0
	s_cbranch_execz .LBB0_14
; %bb.13:
	v_add_f64 v[194:195], v[10:11], -v[42:43]
	v_add_f64 v[192:193], v[6:7], -v[54:55]
	v_add_f64 v[180:181], v[40:41], v[8:9]
	v_add_f64 v[190:191], v[14:15], -v[58:59]
	v_add_f64 v[178:179], v[4:5], v[52:53]
	;; [unrolled: 2-line block ×6, first 2 shown]
	v_add_f64 v[168:169], v[44:45], v[28:29]
	v_add_f64 v[162:163], v[34:35], -v[38:39]
	v_add_f64 v[166:167], v[36:37], v[32:33]
	v_mul_f64 v[201:202], v[194:195], s[38:39]
	v_mul_f64 v[164:165], v[192:193], s[14:15]
	;; [unrolled: 1-line block ×15, first 2 shown]
	v_fma_f64 v[203:204], v[180:181], s[36:37], v[201:202]
	v_fma_f64 v[196:197], v[178:179], s[6:7], v[164:165]
	;; [unrolled: 1-line block ×14, first 2 shown]
	v_fma_f64 v[120:121], v[166:167], s[16:17], -v[120:121]
	v_add_f64 v[203:204], v[0:1], v[203:204]
	v_add_f64 v[207:208], v[0:1], v[207:208]
	;; [unrolled: 1-line block ×12, first 2 shown]
	v_fma_f64 v[152:153], v[178:179], s[6:7], -v[164:165]
	v_mul_f64 v[164:165], v[190:191], s[44:45]
	v_add_f64 v[142:143], v[142:143], v[148:149]
	v_fma_f64 v[148:149], v[174:175], s[4:5], -v[154:155]
	v_fma_f64 v[154:155], v[180:181], s[36:37], -v[201:202]
	v_mul_f64 v[201:202], v[192:193], s[18:19]
	v_fma_f64 v[196:197], v[176:177], s[16:17], v[164:165]
	v_add_f64 v[142:143], v[140:141], v[142:143]
	v_fma_f64 v[140:141], v[168:169], s[22:23], -v[144:145]
	v_add_f64 v[154:155], v[0:1], v[154:155]
	v_fma_f64 v[144:145], v[170:171], s[10:11], -v[146:147]
	v_fma_f64 v[146:147], v[172:173], s[26:27], -v[150:151]
	;; [unrolled: 1-line block ×3, first 2 shown]
	v_fma_f64 v[203:204], v[178:179], s[10:11], v[201:202]
	v_mul_f64 v[158:159], v[188:189], s[46:47]
	v_add_f64 v[152:153], v[152:153], v[154:155]
	v_mul_f64 v[154:155], v[186:187], s[40:41]
	v_add_f64 v[203:204], v[203:204], v[207:208]
	v_fma_f64 v[160:161], v[174:175], s[26:27], v[158:159]
	v_add_f64 v[150:151], v[150:151], v[152:153]
	v_fma_f64 v[156:157], v[172:173], s[6:7], v[154:155]
	v_add_f64 v[196:197], v[196:197], v[203:204]
	v_add_f64 v[148:149], v[148:149], v[150:151]
	v_mul_f64 v[150:151], v[184:185], s[38:39]
	v_add_f64 v[160:161], v[160:161], v[196:197]
	v_add_f64 v[146:147], v[146:147], v[148:149]
	v_fma_f64 v[152:153], v[170:171], s[36:37], v[150:151]
	v_add_f64 v[156:157], v[156:157], v[160:161]
	v_add_f64 v[144:145], v[144:145], v[146:147]
	;; [unrolled: 1-line block ×3, first 2 shown]
	v_fma_f64 v[156:157], v[178:179], s[10:11], -v[201:202]
	v_mul_f64 v[201:202], v[190:191], s[40:41]
	v_add_f64 v[140:141], v[140:141], v[144:145]
	v_mul_f64 v[144:145], v[182:183], s[12:13]
	v_fma_f64 v[203:204], v[176:177], s[6:7], v[201:202]
	v_add_f64 v[146:147], v[120:121], v[140:141]
	v_fma_f64 v[148:149], v[168:169], s[4:5], v[144:145]
	v_mul_f64 v[140:141], v[162:163], s[24:25]
	v_fma_f64 v[144:145], v[168:169], s[4:5], -v[144:145]
	v_add_f64 v[148:149], v[148:149], v[152:153]
	v_fma_f64 v[152:153], v[174:175], s[26:27], -v[158:159]
	v_fma_f64 v[158:159], v[180:181], s[30:31], -v[205:206]
	v_fma_f64 v[120:121], v[166:167], s[22:23], v[140:141]
	v_mul_f64 v[205:206], v[192:193], s[48:49]
	v_fma_f64 v[140:141], v[166:167], s[22:23], -v[140:141]
	v_add_f64 v[158:159], v[0:1], v[158:159]
	v_add_f64 v[120:121], v[120:121], v[148:149]
	v_fma_f64 v[148:149], v[170:171], s[36:37], -v[150:151]
	v_fma_f64 v[150:151], v[172:173], s[6:7], -v[154:155]
	;; [unrolled: 1-line block ×3, first 2 shown]
	v_fma_f64 v[207:208], v[178:179], s[22:23], v[205:206]
	v_mul_f64 v[164:165], v[188:189], s[34:35]
	v_add_f64 v[156:157], v[156:157], v[158:159]
	v_mul_f64 v[158:159], v[186:187], s[20:21]
	v_add_f64 v[207:208], v[207:208], v[211:212]
	v_fma_f64 v[196:197], v[174:175], s[30:31], v[164:165]
	v_add_f64 v[154:155], v[154:155], v[156:157]
	v_fma_f64 v[160:161], v[172:173], s[16:17], v[158:159]
	v_add_f64 v[203:204], v[203:204], v[207:208]
	v_add_f64 v[152:153], v[152:153], v[154:155]
	v_mul_f64 v[154:155], v[184:185], s[42:43]
	v_add_f64 v[196:197], v[196:197], v[203:204]
	v_add_f64 v[150:151], v[150:151], v[152:153]
	v_fma_f64 v[156:157], v[170:171], s[4:5], v[154:155]
	v_add_f64 v[160:161], v[160:161], v[196:197]
	v_add_f64 v[148:149], v[148:149], v[150:151]
	;; [unrolled: 1-line block ×3, first 2 shown]
	v_fma_f64 v[160:161], v[178:179], s[22:23], -v[205:206]
	v_mul_f64 v[205:206], v[190:191], s[12:13]
	v_add_f64 v[144:145], v[144:145], v[148:149]
	v_mul_f64 v[148:149], v[182:183], s[38:39]
	v_fma_f64 v[207:208], v[176:177], s[4:5], v[205:206]
	v_add_f64 v[150:151], v[140:141], v[144:145]
	v_fma_f64 v[152:153], v[168:169], s[36:37], v[148:149]
	v_mul_f64 v[140:141], v[162:163], s[18:19]
	v_fma_f64 v[148:149], v[168:169], s[36:37], -v[148:149]
	v_add_f64 v[152:153], v[152:153], v[156:157]
	v_fma_f64 v[156:157], v[174:175], s[30:31], -v[164:165]
	v_fma_f64 v[164:165], v[180:181], s[26:27], -v[209:210]
	v_fma_f64 v[144:145], v[166:167], s[10:11], v[140:141]
	v_mul_f64 v[209:210], v[192:193], s[52:53]
	v_fma_f64 v[140:141], v[166:167], s[10:11], -v[140:141]
	v_add_f64 v[164:165], v[0:1], v[164:165]
	v_add_f64 v[144:145], v[144:145], v[152:153]
	v_fma_f64 v[152:153], v[170:171], s[4:5], -v[154:155]
	v_fma_f64 v[154:155], v[172:173], s[16:17], -v[158:159]
	;; [unrolled: 1-line block ×3, first 2 shown]
	v_fma_f64 v[211:212], v[178:179], s[30:31], v[209:210]
	v_mul_f64 v[201:202], v[188:189], s[50:51]
	v_add_f64 v[160:161], v[160:161], v[164:165]
	v_mul_f64 v[164:165], v[186:187], s[38:39]
	v_add_f64 v[211:212], v[211:212], v[215:216]
	v_fma_f64 v[203:204], v[174:175], s[10:11], v[201:202]
	v_add_f64 v[158:159], v[158:159], v[160:161]
	v_fma_f64 v[196:197], v[172:173], s[36:37], v[164:165]
	v_add_f64 v[207:208], v[207:208], v[211:212]
	v_add_f64 v[156:157], v[156:157], v[158:159]
	v_mul_f64 v[158:159], v[184:185], s[20:21]
	v_add_f64 v[203:204], v[203:204], v[207:208]
	v_add_f64 v[154:155], v[154:155], v[156:157]
	v_fma_f64 v[160:161], v[170:171], s[16:17], v[158:159]
	v_add_f64 v[196:197], v[196:197], v[203:204]
	v_add_f64 v[152:153], v[152:153], v[154:155]
	v_mul_f64 v[154:155], v[182:183], s[40:41]
	v_add_f64 v[160:161], v[160:161], v[196:197]
	v_fma_f64 v[196:197], v[178:179], s[30:31], -v[209:210]
	v_mul_f64 v[209:210], v[190:191], s[48:49]
	v_add_f64 v[148:149], v[148:149], v[152:153]
	v_fma_f64 v[156:157], v[168:169], s[6:7], v[154:155]
	v_fma_f64 v[154:155], v[168:169], s[6:7], -v[154:155]
	v_fma_f64 v[211:212], v[176:177], s[22:23], v[209:210]
	v_add_f64 v[152:153], v[140:141], v[148:149]
	v_mul_f64 v[148:149], v[162:163], s[28:29]
	v_add_f64 v[156:157], v[156:157], v[160:161]
	v_fma_f64 v[160:161], v[174:175], s[10:11], -v[201:202]
	v_fma_f64 v[201:202], v[180:181], s[22:23], -v[213:214]
	v_mul_f64 v[213:214], v[192:193], s[38:39]
	v_fma_f64 v[140:141], v[166:167], s[26:27], v[148:149]
	v_fma_f64 v[148:149], v[166:167], s[26:27], -v[148:149]
	v_add_f64 v[201:202], v[0:1], v[201:202]
	v_fma_f64 v[215:216], v[178:179], s[36:37], v[213:214]
	v_add_f64 v[140:141], v[140:141], v[156:157]
	v_fma_f64 v[156:157], v[170:171], s[16:17], -v[158:159]
	v_fma_f64 v[158:159], v[172:173], s[36:37], -v[164:165]
	;; [unrolled: 1-line block ×3, first 2 shown]
	v_add_f64 v[196:197], v[196:197], v[201:202]
	v_mul_f64 v[205:206], v[188:189], s[14:15]
	v_add_f64 v[215:216], v[215:216], v[219:220]
	v_mul_f64 v[201:202], v[186:187], s[50:51]
	v_add_f64 v[164:165], v[164:165], v[196:197]
	v_fma_f64 v[207:208], v[174:175], s[6:7], v[205:206]
	v_add_f64 v[211:212], v[211:212], v[215:216]
	v_fma_f64 v[203:204], v[172:173], s[10:11], v[201:202]
	v_add_f64 v[160:161], v[160:161], v[164:165]
	v_mul_f64 v[164:165], v[184:185], s[34:35]
	v_add_f64 v[207:208], v[207:208], v[211:212]
	v_add_f64 v[158:159], v[158:159], v[160:161]
	v_fma_f64 v[196:197], v[170:171], s[30:31], v[164:165]
	v_add_f64 v[203:204], v[203:204], v[207:208]
	v_add_f64 v[156:157], v[156:157], v[158:159]
	v_mul_f64 v[158:159], v[182:183], s[46:47]
	v_add_f64 v[196:197], v[196:197], v[203:204]
	v_fma_f64 v[203:204], v[178:179], s[36:37], -v[213:214]
	v_mul_f64 v[213:214], v[190:191], s[54:55]
	v_add_f64 v[154:155], v[154:155], v[156:157]
	v_fma_f64 v[160:161], v[168:169], s[26:27], v[158:159]
	v_mul_f64 v[156:157], v[162:163], s[12:13]
	v_fma_f64 v[158:159], v[168:169], s[26:27], -v[158:159]
	v_fma_f64 v[215:216], v[176:177], s[36:37], v[213:214]
	v_add_f64 v[154:155], v[148:149], v[154:155]
	v_add_f64 v[160:161], v[160:161], v[196:197]
	v_fma_f64 v[196:197], v[174:175], s[6:7], -v[205:206]
	v_fma_f64 v[205:206], v[180:181], s[16:17], -v[217:218]
	v_fma_f64 v[148:149], v[166:167], s[4:5], v[156:157]
	v_mul_f64 v[217:218], v[192:193], s[28:29]
	v_fma_f64 v[156:157], v[166:167], s[4:5], -v[156:157]
	v_add_f64 v[205:206], v[0:1], v[205:206]
	v_add_f64 v[148:149], v[148:149], v[160:161]
	v_fma_f64 v[160:161], v[170:171], s[30:31], -v[164:165]
	v_fma_f64 v[164:165], v[172:173], s[10:11], -v[201:202]
	;; [unrolled: 1-line block ×3, first 2 shown]
	v_fma_f64 v[219:220], v[178:179], s[26:27], v[217:218]
	v_mul_f64 v[209:210], v[188:189], s[48:49]
	v_add_f64 v[203:204], v[203:204], v[205:206]
	v_mul_f64 v[205:206], v[186:187], s[12:13]
	v_add_f64 v[219:220], v[219:220], v[223:224]
	v_fma_f64 v[211:212], v[174:175], s[22:23], v[209:210]
	v_add_f64 v[201:202], v[201:202], v[203:204]
	v_fma_f64 v[207:208], v[172:173], s[4:5], v[205:206]
	v_add_f64 v[215:216], v[215:216], v[219:220]
	v_add_f64 v[196:197], v[196:197], v[201:202]
	v_mul_f64 v[201:202], v[184:185], s[40:41]
	v_add_f64 v[211:212], v[211:212], v[215:216]
	v_add_f64 v[164:165], v[164:165], v[196:197]
	v_fma_f64 v[203:204], v[170:171], s[6:7], v[201:202]
	v_add_f64 v[207:208], v[207:208], v[211:212]
	v_add_f64 v[160:161], v[160:161], v[164:165]
	v_mul_f64 v[164:165], v[182:183], s[44:45]
	v_add_f64 v[203:204], v[203:204], v[207:208]
	v_fma_f64 v[207:208], v[178:179], s[26:27], -v[217:218]
	v_mul_f64 v[217:218], v[190:191], s[28:29]
	v_mul_f64 v[190:191], v[190:191], s[50:51]
	v_add_f64 v[158:159], v[158:159], v[160:161]
	v_fma_f64 v[196:197], v[168:169], s[16:17], v[164:165]
	v_mul_f64 v[160:161], v[162:163], s[34:35]
	v_fma_f64 v[164:165], v[168:169], s[16:17], -v[164:165]
	v_fma_f64 v[219:220], v[176:177], s[26:27], v[217:218]
	v_add_f64 v[156:157], v[156:157], v[158:159]
	v_add_f64 v[196:197], v[196:197], v[203:204]
	v_fma_f64 v[203:204], v[174:175], s[22:23], -v[209:210]
	v_fma_f64 v[209:210], v[180:181], s[10:11], -v[221:222]
	v_fma_f64 v[158:159], v[166:167], s[30:31], v[160:161]
	v_mul_f64 v[221:222], v[192:193], s[44:45]
	v_fma_f64 v[160:161], v[166:167], s[30:31], -v[160:161]
	v_mul_f64 v[192:193], v[192:193], s[42:43]
	v_add_f64 v[209:210], v[0:1], v[209:210]
	v_add_f64 v[158:159], v[158:159], v[196:197]
	v_fma_f64 v[196:197], v[170:171], s[6:7], -v[201:202]
	v_fma_f64 v[201:202], v[172:173], s[4:5], -v[205:206]
	;; [unrolled: 1-line block ×3, first 2 shown]
	v_fma_f64 v[223:224], v[178:179], s[16:17], v[221:222]
	v_mul_f64 v[213:214], v[188:189], s[38:39]
	v_mul_f64 v[188:189], v[188:189], s[44:45]
	v_add_f64 v[207:208], v[207:208], v[209:210]
	v_mul_f64 v[209:210], v[186:187], s[52:53]
	v_mul_f64 v[186:187], v[186:187], s[24:25]
	v_add_f64 v[223:224], v[223:224], v[227:228]
	v_fma_f64 v[215:216], v[174:175], s[36:37], v[213:214]
	v_add_f64 v[205:206], v[205:206], v[207:208]
	v_fma_f64 v[211:212], v[172:173], s[30:31], v[209:210]
	v_add_f64 v[219:220], v[219:220], v[223:224]
	v_add_f64 v[203:204], v[203:204], v[205:206]
	v_mul_f64 v[205:206], v[184:185], s[48:49]
	v_mul_f64 v[184:185], v[184:185], s[28:29]
	v_add_f64 v[215:216], v[215:216], v[219:220]
	v_add_f64 v[201:202], v[201:202], v[203:204]
	v_fma_f64 v[207:208], v[170:171], s[22:23], v[205:206]
	v_add_f64 v[211:212], v[211:212], v[215:216]
	v_fma_f64 v[215:216], v[180:181], s[6:7], v[194:195]
	v_add_f64 v[196:197], v[196:197], v[201:202]
	v_mul_f64 v[201:202], v[182:183], s[18:19]
	v_mul_f64 v[182:183], v[182:183], s[34:35]
	v_add_f64 v[207:208], v[207:208], v[211:212]
	v_add_f64 v[215:216], v[0:1], v[215:216]
	v_fma_f64 v[211:212], v[178:179], s[16:17], -v[221:222]
	v_add_f64 v[164:165], v[164:165], v[196:197]
	v_fma_f64 v[203:204], v[168:169], s[10:11], v[201:202]
	v_mul_f64 v[196:197], v[162:163], s[14:15]
	v_fma_f64 v[201:202], v[168:169], s[10:11], -v[201:202]
	v_add_f64 v[164:165], v[160:161], v[164:165]
	v_add_f64 v[203:204], v[203:204], v[207:208]
	v_fma_f64 v[207:208], v[174:175], s[36:37], -v[213:214]
	v_fma_f64 v[213:214], v[180:181], s[4:5], -v[225:226]
	;; [unrolled: 1-line block ×3, first 2 shown]
	v_fma_f64 v[160:161], v[166:167], s[6:7], v[196:197]
	v_fma_f64 v[196:197], v[166:167], s[6:7], -v[196:197]
	v_add_f64 v[213:214], v[0:1], v[213:214]
	v_add_f64 v[180:181], v[0:1], v[180:181]
	v_add_f64 v[0:1], v[0:1], v[8:9]
	v_add_f64 v[160:161], v[160:161], v[203:204]
	v_fma_f64 v[203:204], v[170:171], s[22:23], -v[205:206]
	v_fma_f64 v[205:206], v[172:173], s[30:31], -v[209:210]
	;; [unrolled: 1-line block ×3, first 2 shown]
	v_add_f64 v[211:212], v[211:212], v[213:214]
	v_fma_f64 v[213:214], v[178:179], s[4:5], v[192:193]
	v_add_f64 v[0:1], v[4:5], v[0:1]
	v_fma_f64 v[178:179], v[178:179], s[4:5], -v[192:193]
	v_add_f64 v[209:210], v[209:210], v[211:212]
	v_fma_f64 v[211:212], v[176:177], s[10:11], v[190:191]
	v_add_f64 v[0:1], v[12:13], v[0:1]
	v_fma_f64 v[176:177], v[176:177], s[10:11], -v[190:191]
	v_add_f64 v[178:179], v[178:179], v[180:181]
	v_add_f64 v[213:214], v[213:214], v[215:216]
	v_add_f64 v[207:208], v[207:208], v[209:210]
	v_fma_f64 v[209:210], v[174:175], s[16:17], v[188:189]
	v_add_f64 v[0:1], v[16:17], v[0:1]
	v_fma_f64 v[174:175], v[174:175], s[16:17], -v[188:189]
	v_add_f64 v[176:177], v[176:177], v[178:179]
	v_add_f64 v[211:212], v[211:212], v[213:214]
	;; [unrolled: 6-line block ×5, first 2 shown]
	v_add_f64 v[196:197], v[196:197], v[201:202]
	v_mul_f64 v[201:202], v[162:163], s[38:39]
	v_add_f64 v[0:1], v[32:33], v[0:1]
	v_add_f64 v[168:169], v[168:169], v[170:171]
	;; [unrolled: 1-line block ×3, first 2 shown]
	v_fma_f64 v[162:163], v[166:167], s[36:37], v[201:202]
	v_add_f64 v[0:1], v[36:37], v[0:1]
	v_fma_f64 v[166:167], v[166:167], s[36:37], -v[201:202]
	v_add_f64 v[162:163], v[162:163], v[203:204]
	v_add_f64 v[0:1], v[44:45], v[0:1]
	;; [unrolled: 1-line block ×3, first 2 shown]
	v_add3_u32 v168, 0, v199, v137
	v_add_f64 v[0:1], v[48:49], v[0:1]
	v_add_f64 v[0:1], v[64:65], v[0:1]
	;; [unrolled: 1-line block ×6, first 2 shown]
	ds_write2_b64 v168, v[0:1], v[166:167] offset1:1
	ds_write2_b64 v168, v[196:197], v[164:165] offset0:2 offset1:3
	ds_write2_b64 v168, v[156:157], v[154:155] offset0:4 offset1:5
	;; [unrolled: 1-line block ×7, first 2 shown]
	ds_write_b64 v168, v[162:163] offset:128
.LBB0_14:
	s_or_b32 exec_lo, exec_lo, s1
	v_add_f64 v[0:1], v[110:111], v[122:123]
	v_add_f64 v[108:109], v[108:109], -v[132:133]
	v_add_f64 v[100:101], v[100:101], -v[116:117]
	;; [unrolled: 1-line block ×5, first 2 shown]
	s_waitcnt lgkmcnt(0)
	s_barrier
	buffer_gl0_inv
	v_add_f64 v[0:1], v[126:127], v[0:1]
	v_mul_f64 v[142:143], v[108:109], s[50:51]
	v_mul_f64 v[146:147], v[108:109], s[44:45]
	;; [unrolled: 1-line block ×7, first 2 shown]
	v_add_f64 v[0:1], v[102:103], v[0:1]
	v_add_f64 v[102:103], v[102:103], v[118:119]
	;; [unrolled: 1-line block ×12, first 2 shown]
	v_fma_f64 v[74:75], v[70:71], s[36:37], v[72:73]
	v_fma_f64 v[72:73], v[70:71], s[36:37], -v[72:73]
	v_add_f64 v[0:1], v[86:87], v[0:1]
	v_fma_f64 v[86:87], v[78:79], s[26:27], v[84:85]
	v_fma_f64 v[84:85], v[78:79], s[26:27], -v[84:85]
	v_add_f64 v[0:1], v[106:107], v[0:1]
	v_add_f64 v[0:1], v[114:115], v[0:1]
	;; [unrolled: 1-line block ×6, first 2 shown]
	v_mul_f64 v[110:111], v[108:109], s[40:41]
	v_mul_f64 v[134:135], v[108:109], s[42:43]
	v_mul_f64 v[108:109], v[108:109], s[38:39]
	v_fma_f64 v[144:145], v[0:1], s[10:11], v[142:143]
	v_fma_f64 v[132:133], v[0:1], s[6:7], v[110:111]
	v_fma_f64 v[110:111], v[0:1], s[6:7], -v[110:111]
	v_fma_f64 v[140:141], v[0:1], s[4:5], v[134:135]
	v_fma_f64 v[134:135], v[0:1], s[4:5], -v[134:135]
	v_fma_f64 v[142:143], v[0:1], s[10:11], -v[142:143]
	v_fma_f64 v[148:149], v[0:1], s[16:17], v[146:147]
	v_fma_f64 v[146:147], v[0:1], s[16:17], -v[146:147]
	v_fma_f64 v[152:153], v[0:1], s[22:23], v[150:151]
	;; [unrolled: 2-line block ×5, first 2 shown]
	v_fma_f64 v[0:1], v[0:1], s[36:37], -v[108:109]
	v_add_f64 v[108:109], v[130:131], v[126:127]
	v_add_f64 v[144:145], v[144:145], v[122:123]
	;; [unrolled: 1-line block ×17, first 2 shown]
	v_add_f64 v[122:123], v[124:125], -v[128:129]
	v_mul_f64 v[124:125], v[122:123], s[42:43]
	v_mul_f64 v[130:131], v[122:123], s[28:29]
	v_fma_f64 v[126:127], v[108:109], s[4:5], v[124:125]
	v_fma_f64 v[124:125], v[108:109], s[4:5], -v[124:125]
	v_add_f64 v[126:127], v[132:133], v[126:127]
	v_add_f64 v[110:111], v[110:111], v[124:125]
	v_mul_f64 v[124:125], v[122:123], s[44:45]
	v_fma_f64 v[132:133], v[108:109], s[26:27], v[130:131]
	v_fma_f64 v[130:131], v[108:109], s[26:27], -v[130:131]
	v_fma_f64 v[128:129], v[108:109], s[16:17], v[124:125]
	v_fma_f64 v[124:125], v[108:109], s[16:17], -v[124:125]
	v_add_f64 v[130:131], v[142:143], v[130:131]
	v_mul_f64 v[142:143], v[122:123], s[52:53]
	v_add_f64 v[132:133], v[144:145], v[132:133]
	v_add_f64 v[128:129], v[140:141], v[128:129]
	;; [unrolled: 1-line block ×3, first 2 shown]
	v_mul_f64 v[134:135], v[122:123], s[38:39]
	v_fma_f64 v[144:145], v[108:109], s[30:31], v[142:143]
	v_fma_f64 v[142:143], v[108:109], s[30:31], -v[142:143]
	v_fma_f64 v[140:141], v[108:109], s[36:37], v[134:135]
	v_fma_f64 v[134:135], v[108:109], s[36:37], -v[134:135]
	v_add_f64 v[142:143], v[150:151], v[142:143]
	v_mul_f64 v[150:151], v[122:123], s[18:19]
	v_add_f64 v[144:145], v[152:153], v[144:145]
	v_add_f64 v[140:141], v[148:149], v[140:141]
	;; [unrolled: 1-line block ×3, first 2 shown]
	v_mul_f64 v[146:147], v[122:123], s[48:49]
	v_mul_f64 v[122:123], v[122:123], s[14:15]
	v_fma_f64 v[152:153], v[108:109], s[10:11], v[150:151]
	v_fma_f64 v[150:151], v[108:109], s[10:11], -v[150:151]
	v_fma_f64 v[148:149], v[108:109], s[22:23], v[146:147]
	v_fma_f64 v[146:147], v[108:109], s[22:23], -v[146:147]
	v_add_f64 v[152:153], v[160:161], v[152:153]
	v_add_f64 v[150:151], v[158:159], v[150:151]
	;; [unrolled: 1-line block ×4, first 2 shown]
	v_fma_f64 v[154:155], v[108:109], s[6:7], v[122:123]
	v_fma_f64 v[108:109], v[108:109], s[6:7], -v[122:123]
	v_mul_f64 v[122:123], v[100:101], s[54:55]
	v_add_f64 v[154:155], v[162:163], v[154:155]
	v_add_f64 v[0:1], v[0:1], v[108:109]
	v_mul_f64 v[108:109], v[100:101], s[50:51]
	v_fma_f64 v[116:117], v[102:103], s[10:11], v[108:109]
	v_fma_f64 v[108:109], v[102:103], s[10:11], -v[108:109]
	v_add_f64 v[116:117], v[116:117], v[126:127]
	v_add_f64 v[108:109], v[108:109], v[110:111]
	v_mul_f64 v[110:111], v[100:101], s[28:29]
	v_mul_f64 v[126:127], v[100:101], s[48:49]
	v_fma_f64 v[118:119], v[102:103], s[26:27], v[110:111]
	v_fma_f64 v[110:111], v[102:103], s[26:27], -v[110:111]
	v_add_f64 v[118:119], v[118:119], v[128:129]
	v_add_f64 v[110:111], v[110:111], v[124:125]
	v_fma_f64 v[124:125], v[102:103], s[36:37], v[122:123]
	v_fma_f64 v[122:123], v[102:103], s[36:37], -v[122:123]
	v_fma_f64 v[128:129], v[102:103], s[22:23], v[126:127]
	v_fma_f64 v[126:127], v[102:103], s[22:23], -v[126:127]
	v_add_f64 v[124:125], v[124:125], v[132:133]
	v_add_f64 v[122:123], v[122:123], v[130:131]
	v_mul_f64 v[130:131], v[100:101], s[12:13]
	v_add_f64 v[126:127], v[126:127], v[134:135]
	v_mul_f64 v[134:135], v[100:101], s[40:41]
	v_add_f64 v[128:129], v[128:129], v[140:141]
	v_fma_f64 v[132:133], v[102:103], s[4:5], v[130:131]
	v_fma_f64 v[130:131], v[102:103], s[4:5], -v[130:131]
	v_fma_f64 v[140:141], v[102:103], s[6:7], v[134:135]
	v_fma_f64 v[134:135], v[102:103], s[6:7], -v[134:135]
	v_add_f64 v[132:133], v[132:133], v[144:145]
	v_add_f64 v[130:131], v[130:131], v[142:143]
	v_mul_f64 v[142:143], v[100:101], s[44:45]
	v_mul_f64 v[100:101], v[100:101], s[34:35]
	v_add_f64 v[134:135], v[134:135], v[146:147]
	v_add_f64 v[140:141], v[140:141], v[148:149]
	v_fma_f64 v[144:145], v[102:103], s[16:17], v[142:143]
	v_fma_f64 v[146:147], v[102:103], s[30:31], v[100:101]
	v_fma_f64 v[100:101], v[102:103], s[30:31], -v[100:101]
	v_fma_f64 v[142:143], v[102:103], s[16:17], -v[142:143]
	v_add_f64 v[144:145], v[144:145], v[152:153]
	v_add_f64 v[146:147], v[146:147], v[154:155]
	;; [unrolled: 1-line block ×3, first 2 shown]
	v_mul_f64 v[100:101], v[92:93], s[44:45]
	v_add_f64 v[142:143], v[142:143], v[150:151]
	v_fma_f64 v[102:103], v[94:95], s[16:17], v[100:101]
	v_fma_f64 v[100:101], v[94:95], s[16:17], -v[100:101]
	v_add_f64 v[102:103], v[102:103], v[116:117]
	v_add_f64 v[100:101], v[100:101], v[108:109]
	v_mul_f64 v[108:109], v[92:93], s[38:39]
	v_mul_f64 v[116:117], v[92:93], s[14:15]
	v_fma_f64 v[112:113], v[94:95], s[36:37], v[108:109]
	v_fma_f64 v[108:109], v[94:95], s[36:37], -v[108:109]
	v_add_f64 v[112:113], v[112:113], v[118:119]
	v_add_f64 v[108:109], v[108:109], v[110:111]
	v_mul_f64 v[110:111], v[92:93], s[48:49]
	v_fma_f64 v[118:119], v[94:95], s[6:7], v[116:117]
	v_fma_f64 v[116:117], v[94:95], s[6:7], -v[116:117]
	v_fma_f64 v[114:115], v[94:95], s[22:23], v[110:111]
	v_fma_f64 v[110:111], v[94:95], s[22:23], -v[110:111]
	v_add_f64 v[116:117], v[116:117], v[126:127]
	v_mul_f64 v[126:127], v[92:93], s[34:35]
	v_add_f64 v[118:119], v[118:119], v[128:129]
	v_add_f64 v[114:115], v[114:115], v[124:125]
	;; [unrolled: 1-line block ×3, first 2 shown]
	v_mul_f64 v[122:123], v[92:93], s[50:51]
	v_fma_f64 v[128:129], v[94:95], s[30:31], v[126:127]
	v_fma_f64 v[126:127], v[94:95], s[30:31], -v[126:127]
	v_fma_f64 v[124:125], v[94:95], s[10:11], v[122:123]
	v_fma_f64 v[122:123], v[94:95], s[10:11], -v[122:123]
	v_add_f64 v[126:127], v[126:127], v[134:135]
	v_add_f64 v[128:129], v[128:129], v[140:141]
	;; [unrolled: 1-line block ×4, first 2 shown]
	v_mul_f64 v[130:131], v[92:93], s[46:47]
	v_mul_f64 v[92:93], v[92:93], s[12:13]
	v_fma_f64 v[132:133], v[94:95], s[26:27], v[130:131]
	v_fma_f64 v[130:131], v[94:95], s[26:27], -v[130:131]
	v_fma_f64 v[134:135], v[94:95], s[4:5], v[92:93]
	v_fma_f64 v[92:93], v[94:95], s[4:5], -v[92:93]
	v_add_f64 v[94:95], v[96:97], -v[104:105]
	v_add_f64 v[132:133], v[132:133], v[144:145]
	v_add_f64 v[130:131], v[130:131], v[142:143]
	;; [unrolled: 1-line block ×5, first 2 shown]
	v_mul_f64 v[96:97], v[94:95], s[24:25]
	v_mul_f64 v[104:105], v[94:95], s[12:13]
	v_fma_f64 v[98:99], v[92:93], s[22:23], v[96:97]
	v_fma_f64 v[96:97], v[92:93], s[22:23], -v[96:97]
	v_fma_f64 v[106:107], v[92:93], s[4:5], v[104:105]
	v_fma_f64 v[104:105], v[92:93], s[4:5], -v[104:105]
	v_add_f64 v[98:99], v[98:99], v[102:103]
	v_add_f64 v[96:97], v[96:97], v[100:101]
	v_mul_f64 v[100:101], v[94:95], s[52:53]
	v_add_f64 v[104:105], v[104:105], v[110:111]
	v_add_f64 v[106:107], v[106:107], v[114:115]
	;; [unrolled: 1-line block ×4, first 2 shown]
	v_fma_f64 v[102:103], v[92:93], s[30:31], v[100:101]
	v_fma_f64 v[100:101], v[92:93], s[30:31], -v[100:101]
	v_mul_f64 v[96:97], v[76:77], s[40:41]
	v_add_f64 v[102:103], v[102:103], v[112:113]
	v_add_f64 v[100:101], v[100:101], v[108:109]
	v_mul_f64 v[108:109], v[94:95], s[50:51]
	v_mul_f64 v[112:113], v[94:95], s[38:39]
	v_fma_f64 v[98:99], v[78:79], s[6:7], v[96:97]
	v_fma_f64 v[96:97], v[78:79], s[6:7], -v[96:97]
	v_fma_f64 v[110:111], v[92:93], s[10:11], v[108:109]
	v_fma_f64 v[108:109], v[92:93], s[10:11], -v[108:109]
	;; [unrolled: 2-line block ×3, first 2 shown]
	v_add_f64 v[106:107], v[98:99], v[106:107]
	v_mul_f64 v[98:99], v[76:77], s[34:35]
	v_add_f64 v[96:97], v[96:97], v[104:105]
	v_add_f64 v[110:111], v[110:111], v[118:119]
	;; [unrolled: 1-line block ×3, first 2 shown]
	v_mul_f64 v[116:117], v[94:95], s[20:21]
	v_add_f64 v[112:113], v[112:113], v[122:123]
	v_mul_f64 v[122:123], v[94:95], s[40:41]
	v_mul_f64 v[94:95], v[94:95], s[28:29]
	v_add_f64 v[114:115], v[114:115], v[124:125]
	v_fma_f64 v[118:119], v[92:93], s[16:17], v[116:117]
	v_fma_f64 v[116:117], v[92:93], s[16:17], -v[116:117]
	v_fma_f64 v[124:125], v[92:93], s[6:7], v[122:123]
	v_fma_f64 v[122:123], v[92:93], s[6:7], -v[122:123]
	v_add_f64 v[118:119], v[118:119], v[128:129]
	v_add_f64 v[116:117], v[116:117], v[126:127]
	v_fma_f64 v[126:127], v[92:93], s[26:27], v[94:95]
	v_fma_f64 v[92:93], v[92:93], s[26:27], -v[94:95]
	v_add_f64 v[122:123], v[122:123], v[130:131]
	v_add_f64 v[124:125], v[124:125], v[132:133]
	v_add_f64 v[132:133], v[80:81], -v[88:89]
	v_add_f64 v[130:131], v[90:91], v[82:83]
	v_add_f64 v[126:127], v[126:127], v[134:135]
	;; [unrolled: 1-line block ×3, first 2 shown]
	v_mul_f64 v[92:93], v[76:77], s[48:49]
	v_mul_f64 v[80:81], v[132:133], s[46:47]
	;; [unrolled: 1-line block ×3, first 2 shown]
	v_fma_f64 v[94:95], v[78:79], s[22:23], v[92:93]
	v_fma_f64 v[92:93], v[78:79], s[22:23], -v[92:93]
	v_add_f64 v[94:95], v[94:95], v[102:103]
	v_add_f64 v[92:93], v[92:93], v[100:101]
	v_fma_f64 v[100:101], v[78:79], s[30:31], v[98:99]
	v_fma_f64 v[98:99], v[78:79], s[30:31], -v[98:99]
	v_add_f64 v[110:111], v[100:101], v[110:111]
	v_add_f64 v[108:109], v[98:99], v[108:109]
	v_mul_f64 v[98:99], v[76:77], s[20:21]
	v_fma_f64 v[100:101], v[78:79], s[16:17], v[98:99]
	v_fma_f64 v[98:99], v[78:79], s[16:17], -v[98:99]
	v_add_f64 v[114:115], v[100:101], v[114:115]
	v_add_f64 v[112:113], v[98:99], v[112:113]
	v_mul_f64 v[98:99], v[76:77], s[42:43]
	;; [unrolled: 5-line block ×3, first 2 shown]
	v_mul_f64 v[76:77], v[76:77], s[18:19]
	v_fma_f64 v[100:101], v[78:79], s[36:37], v[98:99]
	v_fma_f64 v[98:99], v[78:79], s[36:37], -v[98:99]
	v_add_f64 v[124:125], v[100:101], v[124:125]
	v_add_f64 v[122:123], v[98:99], v[122:123]
	v_fma_f64 v[98:99], v[78:79], s[10:11], v[76:77]
	v_fma_f64 v[76:77], v[78:79], s[10:11], -v[76:77]
	v_fma_f64 v[78:79], v[130:131], s[26:27], v[80:81]
	v_fma_f64 v[80:81], v[130:131], s[26:27], -v[80:81]
	v_add_f64 v[126:127], v[98:99], v[126:127]
	v_add_f64 v[128:129], v[76:77], v[0:1]
	v_mul_f64 v[0:1], v[132:133], s[34:35]
	v_add_f64 v[80:81], v[80:81], v[108:109]
	v_add_f64 v[78:79], v[78:79], v[110:111]
	v_fma_f64 v[76:77], v[130:131], s[30:31], v[0:1]
	v_fma_f64 v[0:1], v[130:131], s[30:31], -v[0:1]
	v_add_f64 v[102:103], v[76:77], v[86:87]
	v_add_f64 v[104:105], v[0:1], v[84:85]
	v_mul_f64 v[0:1], v[132:133], s[18:19]
	v_mul_f64 v[84:85], v[132:133], s[40:41]
	v_fma_f64 v[86:87], v[130:131], s[36:37], v[88:89]
	v_fma_f64 v[88:89], v[130:131], s[36:37], -v[88:89]
	v_fma_f64 v[76:77], v[130:131], s[10:11], v[0:1]
	v_fma_f64 v[0:1], v[130:131], s[10:11], -v[0:1]
	;; [unrolled: 2-line block ×3, first 2 shown]
	v_add_f64 v[88:89], v[88:89], v[116:117]
	v_add_f64 v[86:87], v[86:87], v[118:119]
	;; [unrolled: 1-line block ×3, first 2 shown]
	v_mul_f64 v[76:77], v[132:133], s[44:45]
	v_add_f64 v[100:101], v[0:1], v[92:93]
	v_add_f64 v[82:83], v[82:83], v[114:115]
	v_mul_f64 v[92:93], v[132:133], s[12:13]
	v_add_f64 v[114:115], v[72:73], v[104:105]
	v_mul_f64 v[72:73], v[68:69], s[14:15]
	v_add_f64 v[84:85], v[84:85], v[112:113]
	v_fma_f64 v[0:1], v[130:131], s[16:17], v[76:77]
	v_fma_f64 v[76:77], v[130:131], s[16:17], -v[76:77]
	v_fma_f64 v[90:91], v[130:131], s[4:5], v[92:93]
	v_fma_f64 v[92:93], v[130:131], s[4:5], -v[92:93]
	v_add_f64 v[0:1], v[0:1], v[106:107]
	v_add_f64 v[76:77], v[76:77], v[96:97]
	v_mul_f64 v[96:97], v[132:133], s[24:25]
	v_add_f64 v[90:91], v[90:91], v[124:125]
	v_add_f64 v[92:93], v[92:93], v[122:123]
	v_fma_f64 v[94:95], v[130:131], s[22:23], v[96:97]
	v_fma_f64 v[96:97], v[130:131], s[22:23], -v[96:97]
	v_add_f64 v[130:131], v[74:75], v[102:103]
	v_fma_f64 v[74:75], v[70:71], s[6:7], v[72:73]
	v_fma_f64 v[72:73], v[70:71], s[6:7], -v[72:73]
	v_add_f64 v[94:95], v[94:95], v[126:127]
	v_add_f64 v[96:97], v[96:97], v[128:129]
	v_add_f64 v[148:149], v[74:75], v[98:99]
	v_add_f64 v[116:117], v[72:73], v[100:101]
	v_mul_f64 v[72:73], v[68:69], s[34:35]
	v_fma_f64 v[74:75], v[70:71], s[30:31], v[72:73]
	v_add_f64 v[154:155], v[74:75], v[0:1]
	v_fma_f64 v[0:1], v[70:71], s[30:31], -v[72:73]
	v_add_f64 v[118:119], v[0:1], v[76:77]
	v_mul_f64 v[0:1], v[68:69], s[12:13]
	v_fma_f64 v[72:73], v[70:71], s[4:5], v[0:1]
	v_fma_f64 v[0:1], v[70:71], s[4:5], -v[0:1]
	v_add_f64 v[144:145], v[72:73], v[78:79]
	v_add_f64 v[122:123], v[0:1], v[80:81]
	v_mul_f64 v[0:1], v[68:69], s[28:29]
	v_fma_f64 v[72:73], v[70:71], s[26:27], v[0:1]
	v_fma_f64 v[0:1], v[70:71], s[26:27], -v[0:1]
	v_add_f64 v[146:147], v[72:73], v[82:83]
	;; [unrolled: 5-line block ×5, first 2 shown]
	v_lshlrev_b32_e32 v68, 3, v136
	v_add_f64 v[134:135], v[0:1], v[96:97]
	v_add3_u32 v151, 0, v68, v137
	v_add3_u32 v150, 0, v137, v68
	v_add_nc_u32_e32 v152, 0x400, v151
	v_add_nc_u32_e32 v153, 0x800, v151
	ds_read_b64 v[0:1], v150
	ds_read2_b64 v[68:71], v151 offset0:119 offset1:136
	ds_read2_b64 v[84:87], v152 offset0:127 offset1:144
	;; [unrolled: 1-line block ×11, first 2 shown]
	ds_read_b64 v[112:113], v151 offset:3128
	s_waitcnt lgkmcnt(0)
	s_barrier
	buffer_gl0_inv
	ds_write2_b64 v200, v[120:121], v[130:131] offset1:1
	ds_write2_b64 v200, v[148:149], v[154:155] offset0:2 offset1:3
	ds_write2_b64 v200, v[144:145], v[146:147] offset0:4 offset1:5
	ds_write2_b64 v200, v[140:141], v[142:143] offset0:6 offset1:7
	ds_write2_b64 v200, v[132:133], v[134:135] offset0:8 offset1:9
	ds_write2_b64 v200, v[128:129], v[126:127] offset0:10 offset1:11
	ds_write2_b64 v200, v[124:125], v[122:123] offset0:12 offset1:13
	ds_write2_b64 v200, v[118:119], v[116:117] offset0:14 offset1:15
	ds_write_b64 v200, v[114:115] offset:128
	s_and_saveexec_b32 s33, s0
	s_cbranch_execz .LBB0_16
; %bb.15:
	v_add_f64 v[114:115], v[2:3], v[10:11]
	v_add_f64 v[32:33], v[32:33], -v[36:37]
	v_add_f64 v[8:9], v[8:9], -v[40:41]
	s_mov_b32 s30, 0x5d8e7cdc
	s_mov_b32 s42, 0x2a9d6da3
	;; [unrolled: 1-line block ×16, first 2 shown]
	v_add_f64 v[28:29], v[28:29], -v[44:45]
	v_add_f64 v[24:25], v[24:25], -v[48:49]
	v_add_f64 v[10:11], v[42:43], v[10:11]
	v_add_f64 v[114:115], v[6:7], v[114:115]
	v_add_f64 v[4:5], v[4:5], -v[52:53]
	v_mul_f64 v[40:41], v[8:9], s[42:43]
	v_mul_f64 v[44:45], v[8:9], s[44:45]
	;; [unrolled: 1-line block ×4, first 2 shown]
	s_mov_b32 s12, 0x370991
	s_mov_b32 s10, 0x75d4884
	;; [unrolled: 1-line block ×16, first 2 shown]
	v_add_f64 v[114:115], v[14:15], v[114:115]
	v_add_f64 v[20:21], v[20:21], -v[64:65]
	v_add_f64 v[16:17], v[16:17], -v[60:61]
	v_add_f64 v[14:15], v[14:15], v[58:59]
	v_add_f64 v[12:13], v[12:13], -v[56:57]
	v_add_f64 v[6:7], v[6:7], v[54:55]
	v_fma_f64 v[56:57], v[10:11], s[10:11], v[40:41]
	v_fma_f64 v[40:41], v[10:11], s[10:11], -v[40:41]
	s_mov_b32 s49, 0x3fe0d888
	s_mov_b32 s47, 0x3feec746
	;; [unrolled: 1-line block ×4, first 2 shown]
	v_mul_f64 v[116:117], v[4:5], s[22:23]
	v_mul_f64 v[118:119], v[4:5], s[48:49]
	;; [unrolled: 1-line block ×3, first 2 shown]
	s_mov_b32 s29, 0x3feca52d
	s_mov_b32 s35, 0x3fd71e95
	;; [unrolled: 1-line block ×4, first 2 shown]
	v_mul_f64 v[122:123], v[4:5], s[28:29]
	s_mov_b32 s41, 0x3fc7851a
	s_mov_b32 s39, 0x3fe58eea
	v_add_f64 v[114:115], v[18:19], v[114:115]
	v_add_f64 v[18:19], v[62:63], v[18:19]
	s_mov_b32 s40, s22
	s_mov_b32 s38, s42
	;; [unrolled: 1-line block ×4, first 2 shown]
	v_add_f64 v[40:41], v[2:3], v[40:41]
	v_fma_f64 v[130:131], v[6:7], s[4:5], v[116:117]
	v_fma_f64 v[116:117], v[6:7], s[4:5], -v[116:117]
	v_fma_f64 v[132:133], v[6:7], s[20:21], v[118:119]
	v_fma_f64 v[118:119], v[6:7], s[20:21], -v[118:119]
	;; [unrolled: 2-line block ×4, first 2 shown]
	v_add_f64 v[114:115], v[22:23], v[114:115]
	v_add_f64 v[22:23], v[22:23], v[66:67]
	;; [unrolled: 1-line block ×9, first 2 shown]
	v_mul_f64 v[38:39], v[8:9], s[30:31]
	v_add_f64 v[36:37], v[46:47], v[36:37]
	v_mul_f64 v[46:47], v[8:9], s[36:37]
	v_add_f64 v[36:37], v[50:51], v[36:37]
	v_mul_f64 v[50:51], v[8:9], s[24:25]
	v_mul_f64 v[8:9], v[8:9], s[22:23]
	v_fma_f64 v[60:61], v[10:11], s[0:1], v[46:47]
	v_fma_f64 v[46:47], v[10:11], s[0:1], -v[46:47]
	v_add_f64 v[36:37], v[66:67], v[36:37]
	v_fma_f64 v[64:65], v[10:11], s[16:17], v[50:51]
	v_fma_f64 v[50:51], v[10:11], s[16:17], -v[50:51]
	v_fma_f64 v[66:67], v[10:11], s[20:21], v[52:53]
	v_fma_f64 v[52:53], v[10:11], s[20:21], -v[52:53]
	;; [unrolled: 2-line block ×3, first 2 shown]
	v_add_f64 v[46:47], v[2:3], v[46:47]
	v_add_f64 v[36:37], v[62:63], v[36:37]
	v_fma_f64 v[62:63], v[10:11], s[14:15], v[48:49]
	v_fma_f64 v[48:49], v[10:11], s[14:15], -v[48:49]
	v_add_f64 v[50:51], v[2:3], v[50:51]
	v_add_f64 v[52:53], v[2:3], v[52:53]
	;; [unrolled: 1-line block ×3, first 2 shown]
	v_mul_f64 v[116:117], v[12:13], s[38:39]
	v_add_f64 v[36:37], v[58:59], v[36:37]
	v_fma_f64 v[58:59], v[10:11], s[6:7], v[44:45]
	v_fma_f64 v[44:45], v[10:11], s[6:7], -v[44:45]
	v_add_f64 v[48:49], v[2:3], v[48:49]
	v_add_f64 v[50:51], v[120:121], v[50:51]
	v_mul_f64 v[120:121], v[12:13], s[36:37]
	v_add_f64 v[52:53], v[122:123], v[52:53]
	v_add_f64 v[36:37], v[54:55], v[36:37]
	v_fma_f64 v[54:55], v[10:11], s[12:13], v[38:39]
	v_fma_f64 v[38:39], v[10:11], s[12:13], -v[38:39]
	v_add_f64 v[44:45], v[2:3], v[44:45]
	v_add_f64 v[48:49], v[118:119], v[48:49]
	v_mul_f64 v[118:119], v[12:13], s[30:31]
	v_fma_f64 v[144:145], v[14:15], s[0:1], v[120:121]
	v_fma_f64 v[120:121], v[14:15], s[0:1], -v[120:121]
	v_add_f64 v[10:11], v[2:3], v[54:55]
	v_add_f64 v[38:39], v[2:3], v[38:39]
	;; [unrolled: 1-line block ×11, first 2 shown]
	v_mul_f64 v[36:37], v[4:5], s[42:43]
	v_mul_f64 v[42:43], v[4:5], s[36:37]
	v_mul_f64 v[114:115], v[4:5], s[24:25]
	v_mul_f64 v[4:5], v[4:5], s[34:35]
	v_fma_f64 v[124:125], v[6:7], s[10:11], v[36:37]
	v_fma_f64 v[36:37], v[6:7], s[10:11], -v[36:37]
	v_fma_f64 v[126:127], v[6:7], s[0:1], v[42:43]
	v_fma_f64 v[42:43], v[6:7], s[0:1], -v[42:43]
	;; [unrolled: 2-line block ×4, first 2 shown]
	v_add_f64 v[6:7], v[124:125], v[10:11]
	v_add_f64 v[10:11], v[36:37], v[38:39]
	;; [unrolled: 1-line block ×9, first 2 shown]
	v_mul_f64 v[58:59], v[12:13], s[44:45]
	v_mul_f64 v[60:61], v[12:13], s[24:25]
	v_mul_f64 v[62:63], v[12:13], s[40:41]
	v_mul_f64 v[114:115], v[12:13], s[46:47]
	v_mul_f64 v[12:13], v[12:13], s[26:27]
	v_fma_f64 v[132:133], v[14:15], s[10:11], v[116:117]
	v_fma_f64 v[134:135], v[14:15], s[12:13], v[118:119]
	v_fma_f64 v[116:117], v[14:15], s[10:11], -v[116:117]
	v_fma_f64 v[118:119], v[14:15], s[12:13], -v[118:119]
	v_add_f64 v[2:3], v[4:5], v[2:3]
	s_mov_b32 s41, 0x3fefdd0d
	s_mov_b32 s40, s36
	v_fma_f64 v[124:125], v[14:15], s[6:7], v[58:59]
	v_fma_f64 v[58:59], v[14:15], s[6:7], -v[58:59]
	v_fma_f64 v[126:127], v[14:15], s[16:17], v[60:61]
	v_fma_f64 v[60:61], v[14:15], s[16:17], -v[60:61]
	;; [unrolled: 2-line block ×5, first 2 shown]
	v_add_f64 v[14:15], v[140:141], v[64:65]
	v_add_f64 v[64:65], v[142:143], v[66:67]
	v_mul_f64 v[66:67], v[16:17], s[44:45]
	v_add_f64 v[48:49], v[116:117], v[48:49]
	v_add_f64 v[50:51], v[118:119], v[50:51]
	v_mul_f64 v[116:117], v[16:17], s[50:51]
	v_add_f64 v[4:5], v[124:125], v[6:7]
	v_add_f64 v[6:7], v[58:59], v[10:11]
	;; [unrolled: 1-line block ×10, first 2 shown]
	v_mul_f64 v[56:57], v[16:17], s[36:37]
	v_mul_f64 v[58:59], v[16:17], s[22:23]
	v_mul_f64 v[60:61], v[16:17], s[46:47]
	v_mul_f64 v[62:63], v[16:17], s[34:35]
	v_mul_f64 v[114:115], v[16:17], s[26:27]
	v_mul_f64 v[16:17], v[16:17], s[38:39]
	v_fma_f64 v[128:129], v[18:19], s[6:7], v[66:67]
	v_fma_f64 v[66:67], v[18:19], s[6:7], -v[66:67]
	v_fma_f64 v[132:133], v[18:19], s[16:17], v[116:117]
	v_fma_f64 v[116:117], v[18:19], s[16:17], -v[116:117]
	v_add_f64 v[2:3], v[12:13], v[2:3]
	v_add_f64 v[14:15], v[144:145], v[14:15]
	v_fma_f64 v[118:119], v[18:19], s[0:1], v[56:57]
	v_fma_f64 v[56:57], v[18:19], s[0:1], -v[56:57]
	v_fma_f64 v[122:123], v[18:19], s[4:5], v[58:59]
	v_fma_f64 v[58:59], v[18:19], s[4:5], -v[58:59]
	;; [unrolled: 2-line block ×6, first 2 shown]
	v_add_f64 v[18:19], v[120:121], v[52:53]
	v_add_f64 v[52:53], v[146:147], v[64:65]
	v_mul_f64 v[64:65], v[20:21], s[40:41]
	v_add_f64 v[14:15], v[132:133], v[14:15]
	v_add_f64 v[4:5], v[118:119], v[4:5]
	v_add_f64 v[6:7], v[56:57], v[6:7]
	v_mul_f64 v[56:57], v[20:21], s[48:49]
	v_add_f64 v[12:13], v[58:59], v[36:37]
	v_add_f64 v[36:37], v[124:125], v[38:39]
	;; [unrolled: 1-line block ×8, first 2 shown]
	v_mul_f64 v[54:55], v[20:21], s[18:19]
	v_mul_f64 v[58:59], v[20:21], s[38:39]
	v_mul_f64 v[60:61], v[20:21], s[44:45]
	v_mul_f64 v[62:63], v[20:21], s[22:23]
	v_add_f64 v[10:11], v[122:123], v[10:11]
	v_add_f64 v[50:51], v[114:115], v[50:51]
	v_mul_f64 v[66:67], v[20:21], s[30:31]
	v_mul_f64 v[20:21], v[20:21], s[24:25]
	v_fma_f64 v[126:127], v[22:23], s[0:1], v[64:65]
	v_fma_f64 v[64:65], v[22:23], s[0:1], -v[64:65]
	v_add_f64 v[2:3], v[16:17], v[2:3]
	v_add_f64 v[18:19], v[116:117], v[18:19]
	v_fma_f64 v[118:119], v[22:23], s[20:21], v[56:57]
	v_fma_f64 v[56:57], v[22:23], s[20:21], -v[56:57]
	v_fma_f64 v[114:115], v[22:23], s[14:15], v[54:55]
	v_fma_f64 v[54:55], v[22:23], s[14:15], -v[54:55]
	;; [unrolled: 2-line block ×7, first 2 shown]
	v_add_f64 v[22:23], v[134:135], v[52:53]
	v_mul_f64 v[52:53], v[24:25], s[46:47]
	v_add_f64 v[12:13], v[56:57], v[12:13]
	v_mul_f64 v[56:57], v[24:25], s[26:27]
	v_add_f64 v[10:11], v[118:119], v[10:11]
	v_add_f64 v[50:51], v[64:65], v[50:51]
	;; [unrolled: 1-line block ×11, first 2 shown]
	v_mul_f64 v[48:49], v[24:25], s[24:25]
	v_mul_f64 v[54:55], v[24:25], s[30:31]
	;; [unrolled: 1-line block ×6, first 2 shown]
	v_fma_f64 v[114:115], v[26:27], s[14:15], v[52:53]
	v_fma_f64 v[52:53], v[26:27], s[14:15], -v[52:53]
	v_fma_f64 v[118:119], v[26:27], s[20:21], v[56:57]
	v_fma_f64 v[56:57], v[26:27], s[20:21], -v[56:57]
	v_add_f64 v[18:19], v[66:67], v[18:19]
	v_add_f64 v[2:3], v[20:21], v[2:3]
	;; [unrolled: 1-line block ×4, first 2 shown]
	v_fma_f64 v[64:65], v[26:27], s[16:17], v[48:49]
	v_fma_f64 v[48:49], v[26:27], s[16:17], -v[48:49]
	v_fma_f64 v[116:117], v[26:27], s[12:13], v[54:55]
	v_fma_f64 v[54:55], v[26:27], s[12:13], -v[54:55]
	;; [unrolled: 2-line block ×6, first 2 shown]
	v_add_f64 v[12:13], v[52:53], v[12:13]
	v_add_f64 v[26:27], v[118:119], v[38:39]
	v_mul_f64 v[52:53], v[28:29], s[50:51]
	v_add_f64 v[10:11], v[114:115], v[10:11]
	v_add_f64 v[4:5], v[64:65], v[4:5]
	v_add_f64 v[6:7], v[48:49], v[6:7]
	v_mul_f64 v[48:49], v[28:29], s[36:37]
	v_add_f64 v[20:21], v[54:55], v[36:37]
	;; [unrolled: 4-line block ×3, first 2 shown]
	v_mul_f64 v[44:45], v[28:29], s[28:29]
	v_mul_f64 v[54:55], v[28:29], s[30:31]
	v_add_f64 v[50:51], v[60:61], v[50:51]
	v_add_f64 v[18:19], v[62:63], v[18:19]
	v_mul_f64 v[56:57], v[28:29], s[22:23]
	v_mul_f64 v[58:59], v[28:29], s[38:39]
	;; [unrolled: 1-line block ×3, first 2 shown]
	v_add_f64 v[2:3], v[24:25], v[2:3]
	v_fma_f64 v[64:65], v[30:31], s[16:17], v[52:53]
	v_fma_f64 v[52:53], v[30:31], s[16:17], -v[52:53]
	v_add_f64 v[16:17], v[116:117], v[16:17]
	v_add_f64 v[46:47], v[122:123], v[46:47]
	;; [unrolled: 1-line block ×4, first 2 shown]
	v_fma_f64 v[62:63], v[30:31], s[0:1], v[48:49]
	v_fma_f64 v[48:49], v[30:31], s[0:1], -v[48:49]
	v_fma_f64 v[24:25], v[30:31], s[20:21], v[40:41]
	v_fma_f64 v[40:41], v[30:31], s[20:21], -v[40:41]
	;; [unrolled: 2-line block ×7, first 2 shown]
	v_add_f64 v[30:31], v[52:53], v[36:37]
	v_mul_f64 v[36:37], v[32:33], s[26:27]
	v_mul_f64 v[52:53], v[32:33], s[18:19]
	v_add_f64 v[16:17], v[62:63], v[16:17]
	v_add_f64 v[20:21], v[48:49], v[20:21]
	v_mul_f64 v[48:49], v[32:33], s[28:29]
	v_add_f64 v[4:5], v[24:25], v[4:5]
	v_add_f64 v[6:7], v[40:41], v[6:7]
	;; [unrolled: 1-line block ×4, first 2 shown]
	v_mul_f64 v[26:27], v[32:33], s[34:35]
	v_mul_f64 v[40:41], v[32:33], s[38:39]
	v_add_f64 v[42:43], v[54:55], v[42:43]
	v_mul_f64 v[44:45], v[32:33], s[24:25]
	v_mul_f64 v[54:55], v[32:33], s[40:41]
	;; [unrolled: 1-line block ×3, first 2 shown]
	v_add_f64 v[46:47], v[114:115], v[46:47]
	v_add_f64 v[10:11], v[60:61], v[10:11]
	;; [unrolled: 1-line block ×4, first 2 shown]
	v_fma_f64 v[56:57], v[34:35], s[20:21], v[36:37]
	v_add_f64 v[38:39], v[66:67], v[38:39]
	v_add_f64 v[18:19], v[58:59], v[18:19]
	;; [unrolled: 1-line block ×3, first 2 shown]
	v_fma_f64 v[64:65], v[34:35], s[14:15], v[52:53]
	v_add_f64 v[22:23], v[118:119], v[22:23]
	v_fma_f64 v[62:63], v[34:35], s[6:7], v[48:49]
	v_fma_f64 v[48:49], v[34:35], s[6:7], -v[48:49]
	v_fma_f64 v[52:53], v[34:35], s[14:15], -v[52:53]
	;; [unrolled: 1-line block ×3, first 2 shown]
	v_fma_f64 v[28:29], v[34:35], s[12:13], v[26:27]
	v_fma_f64 v[58:59], v[34:35], s[10:11], v[40:41]
	v_fma_f64 v[26:27], v[34:35], s[12:13], -v[26:27]
	v_fma_f64 v[60:61], v[34:35], s[16:17], v[44:45]
	v_fma_f64 v[40:41], v[34:35], s[10:11], -v[40:41]
	v_fma_f64 v[114:115], v[34:35], s[4:5], v[32:33]
	v_fma_f64 v[66:67], v[34:35], s[0:1], v[54:55]
	v_fma_f64 v[54:55], v[34:35], s[0:1], -v[54:55]
	v_fma_f64 v[44:45], v[34:35], s[16:17], -v[44:45]
	;; [unrolled: 1-line block ×3, first 2 shown]
	v_add_f64 v[16:17], v[56:57], v[16:17]
	v_add_f64 v[14:15], v[64:65], v[14:15]
	;; [unrolled: 1-line block ×16, first 2 shown]
	v_add3_u32 v32, 0, v199, v137
	ds_write2_b64 v32, v[8:9], v[4:5] offset1:1
	ds_write2_b64 v32, v[10:11], v[16:17] offset0:2 offset1:3
	ds_write2_b64 v32, v[24:25], v[28:29] offset0:4 offset1:5
	ds_write2_b64 v32, v[30:31], v[14:15] offset0:6 offset1:7
	ds_write2_b64 v32, v[22:23], v[2:3] offset0:8 offset1:9
	ds_write2_b64 v32, v[18:19], v[34:35] offset0:10 offset1:11
	ds_write2_b64 v32, v[38:39], v[26:27] offset0:12 offset1:13
	ds_write2_b64 v32, v[20:21], v[12:13] offset0:14 offset1:15
	ds_write_b64 v32, v[6:7] offset:128
.LBB0_16:
	s_or_b32 exec_lo, exec_lo, s33
	v_add_nc_u16 v18, v136, 51
	v_add_nc_u16 v19, v136, 0x44
	v_add_nc_u32_e32 v50, 34, v136
	v_add_nc_u16 v20, v136, 0x55
	v_add_nc_u16 v26, v136, 0x66
	v_and_b32_e32 v5, 0xff, v18
	v_and_b32_e32 v6, 0xff, v19
	;; [unrolled: 1-line block ×4, first 2 shown]
	v_add_nc_u16 v34, v136, 0x77
	v_mul_lo_u16 v5, 0xf1, v5
	v_mul_lo_u16 v9, 0xf1, v6
	;; [unrolled: 1-line block ×3, first 2 shown]
	v_and_b32_e32 v21, 0xff, v26
	v_lshlrev_b32_e32 v44, 1, v136
	v_lshrrev_b16 v23, 12, v5
	v_lshrrev_b16 v24, 12, v9
	v_mov_b32_e32 v45, 0
	v_lshrrev_b16 v4, 12, v2
	v_mul_lo_u16 v22, 0xf1, v8
	v_mul_lo_u16 v23, v23, 17
	v_and_b32_e32 v25, 0xff, v34
	v_mul_lo_u16 v24, v24, 17
	v_mul_lo_u16 v21, 0xf1, v21
	v_lshlrev_b64 v[2:3], 4, v[44:45]
	v_mul_lo_u16 v4, v4, 17
	v_lshrrev_b16 v22, 12, v22
	v_sub_nc_u16 v67, v18, v23
	v_mul_lo_u16 v18, 0xf1, v25
	v_sub_nc_u16 v148, v19, v24
	v_lshrrev_b16 v19, 12, v21
	v_mov_b32_e32 v42, 5
	v_sub_nc_u16 v44, v50, v4
	v_mul_lo_u16 v21, v22, 17
	v_add_co_u32 v6, s0, s8, v2
	v_lshrrev_b16 v27, 12, v18
	v_add_co_ci_u32_e64 v7, s0, s9, v3, s0
	v_mul_lo_u16 v28, v19, 17
	v_lshlrev_b32_sdwa v14, v42, v44 dst_sel:DWORD dst_unused:UNUSED_PAD src0_sel:DWORD src1_sel:BYTE_0
	v_sub_nc_u16 v149, v20, v21
	v_lshlrev_b32_sdwa v22, v42, v67 dst_sel:DWORD dst_unused:UNUSED_PAD src0_sel:DWORD src1_sel:BYTE_0
	v_mul_lo_u16 v35, v27, 17
	s_waitcnt lgkmcnt(0)
	s_barrier
	buffer_gl0_inv
	s_clause 0x3
	global_load_dwordx4 v[2:5], v[6:7], off offset:16
	global_load_dwordx4 v[6:9], v[6:7], off
	global_load_dwordx4 v[10:13], v14, s[8:9] offset:16
	global_load_dwordx4 v[14:17], v14, s[8:9]
	v_lshlrev_b32_sdwa v30, v42, v148 dst_sel:DWORD dst_unused:UNUSED_PAD src0_sel:DWORD src1_sel:BYTE_0
	v_sub_nc_u16 v166, v26, v28
	v_lshlrev_b32_sdwa v38, v42, v149 dst_sel:DWORD dst_unused:UNUSED_PAD src0_sel:DWORD src1_sel:BYTE_0
	s_clause 0x1
	global_load_dwordx4 v[18:21], v22, s[8:9] offset:16
	global_load_dwordx4 v[22:25], v22, s[8:9]
	v_sub_nc_u16 v167, v34, v35
	s_clause 0x1
	global_load_dwordx4 v[26:29], v30, s[8:9]
	global_load_dwordx4 v[30:33], v30, s[8:9] offset:16
	v_lshlrev_b32_sdwa v43, v42, v166 dst_sel:DWORD dst_unused:UNUSED_PAD src0_sel:DWORD src1_sel:BYTE_0
	s_clause 0x1
	global_load_dwordx4 v[34:37], v38, s[8:9]
	global_load_dwordx4 v[38:41], v38, s[8:9] offset:16
	v_mov_b32_e32 v168, 3
	v_lshlrev_b32_sdwa v42, v42, v167 dst_sel:DWORD dst_unused:UNUSED_PAD src0_sel:DWORD src1_sel:BYTE_0
	s_clause 0x3
	global_load_dwordx4 v[46:49], v43, s[8:9]
	global_load_dwordx4 v[51:54], v43, s[8:9] offset:16
	global_load_dwordx4 v[55:58], v42, s[8:9]
	global_load_dwordx4 v[59:62], v42, s[8:9] offset:16
	ds_read2_b64 v[63:66], v151 offset0:119 offset1:136
	ds_read2_b64 v[114:117], v152 offset0:127 offset1:144
	ds_read2_b64 v[118:121], v151 offset0:17 offset1:34
	ds_read2_b64 v[122:125], v151 offset0:153 offset1:170
	ds_read2_b64 v[126:129], v153 offset0:33 offset1:50
	ds_read2_b64 v[130:133], v151 offset0:51 offset1:68
	ds_read2_b64 v[140:143], v151 offset0:187 offset1:204
	ds_read2_b64 v[144:147], v153 offset0:67 offset1:84
	ds_read2_b64 v[154:157], v151 offset0:85 offset1:102
	ds_read2_b64 v[158:161], v151 offset0:221 offset1:238
	ds_read2_b64 v[162:165], v153 offset0:101 offset1:118
	ds_read_b64 v[42:43], v150
	ds_read_b64 v[134:135], v151 offset:3128
	v_lshlrev_b32_sdwa v44, v168, v44 dst_sel:DWORD dst_unused:UNUSED_PAD src0_sel:DWORD src1_sel:BYTE_0
	v_lshlrev_b32_sdwa v67, v168, v67 dst_sel:DWORD dst_unused:UNUSED_PAD src0_sel:DWORD src1_sel:BYTE_0
	;; [unrolled: 1-line block ×6, first 2 shown]
	v_add3_u32 v44, 0, v44, v137
	v_add3_u32 v204, 0, v67, v137
	;; [unrolled: 1-line block ×6, first 2 shown]
	s_mov_b32 s0, 0xe8584caa
	s_mov_b32 s1, 0x3febb67a
	;; [unrolled: 1-line block ×4, first 2 shown]
	s_waitcnt vmcnt(0) lgkmcnt(0)
	s_barrier
	buffer_gl0_inv
	v_add_nc_u32_e32 v205, 0x400, v201
	v_add_nc_u32_e32 v206, 0x800, v202
	;; [unrolled: 1-line block ×3, first 2 shown]
	v_mul_f64 v[168:169], v[116:117], v[4:5]
	v_mul_f64 v[148:149], v[65:66], v[8:9]
	;; [unrolled: 1-line block ×32, first 2 shown]
	v_fma_f64 v[70:71], v[70:71], v[6:7], -v[148:149]
	v_fma_f64 v[86:87], v[86:87], v[2:3], -v[168:169]
	v_fma_f64 v[65:66], v[65:66], v[6:7], v[166:167]
	v_fma_f64 v[116:117], v[116:117], v[2:3], v[170:171]
	v_fma_f64 v[88:89], v[88:89], v[6:7], -v[172:173]
	v_fma_f64 v[6:7], v[122:123], v[6:7], v[8:9]
	v_fma_f64 v[8:9], v[108:109], v[2:3], -v[174:175]
	v_fma_f64 v[2:3], v[126:127], v[2:3], v[4:5]
	v_fma_f64 v[4:5], v[90:91], v[14:15], -v[176:177]
	v_fma_f64 v[14:15], v[124:125], v[14:15], v[16:17]
	v_fma_f64 v[16:17], v[110:111], v[10:11], -v[178:179]
	v_fma_f64 v[10:11], v[128:129], v[10:11], v[12:13]
	v_fma_f64 v[12:13], v[104:105], v[22:23], -v[180:181]
	v_fma_f64 v[22:23], v[140:141], v[22:23], v[24:25]
	v_fma_f64 v[24:25], v[100:101], v[18:19], -v[182:183]
	v_fma_f64 v[18:19], v[144:145], v[18:19], v[20:21]
	v_fma_f64 v[20:21], v[106:107], v[26:27], -v[184:185]
	v_fma_f64 v[26:27], v[142:143], v[26:27], v[28:29]
	v_fma_f64 v[28:29], v[102:103], v[30:31], -v[186:187]
	v_fma_f64 v[30:31], v[146:147], v[30:31], v[32:33]
	v_fma_f64 v[32:33], v[96:97], v[34:35], -v[188:189]
	v_fma_f64 v[34:35], v[158:159], v[34:35], v[36:37]
	v_fma_f64 v[36:37], v[92:93], v[38:39], -v[190:191]
	v_fma_f64 v[38:39], v[162:163], v[38:39], v[40:41]
	v_fma_f64 v[40:41], v[98:99], v[46:47], -v[192:193]
	v_fma_f64 v[46:47], v[160:161], v[46:47], v[48:49]
	v_fma_f64 v[48:49], v[94:95], v[51:52], -v[194:195]
	v_fma_f64 v[51:52], v[164:165], v[51:52], v[53:54]
	v_fma_f64 v[53:54], v[84:85], v[55:56], -v[196:197]
	v_fma_f64 v[55:56], v[114:115], v[55:56], v[57:58]
	v_fma_f64 v[57:58], v[112:113], v[59:60], -v[199:200]
	v_fma_f64 v[59:60], v[134:135], v[59:60], v[61:62]
	v_add_f64 v[84:85], v[70:71], v[86:87]
	v_add_f64 v[90:91], v[65:66], -v[116:117]
	v_add_f64 v[92:93], v[42:43], v[65:66]
	v_add_f64 v[65:66], v[65:66], v[116:117]
	v_add_f64 v[96:97], v[88:89], v[8:9]
	v_add_f64 v[98:99], v[6:7], -v[2:3]
	v_add_f64 v[100:101], v[118:119], v[6:7]
	v_add_f64 v[6:7], v[6:7], v[2:3]
	v_add_f64 v[102:103], v[74:75], v[4:5]
	v_add_f64 v[104:105], v[4:5], v[16:17]
	v_add_f64 v[106:107], v[14:15], -v[10:11]
	v_add_f64 v[108:109], v[120:121], v[14:15]
	;; [unrolled: 5-line block ×3, first 2 shown]
	v_add_f64 v[22:23], v[22:23], v[18:19]
	v_add_f64 v[124:125], v[82:83], v[20:21]
	;; [unrolled: 1-line block ×11, first 2 shown]
	v_add_f64 v[128:129], v[26:27], -v[30:31]
	v_add_f64 v[26:27], v[26:27], v[30:31]
	v_add_f64 v[144:145], v[34:35], -v[38:39]
	v_add_f64 v[34:35], v[34:35], v[38:39]
	;; [unrolled: 2-line block ×3, first 2 shown]
	v_add_f64 v[46:47], v[46:47], v[51:52]
	v_add_f64 v[168:169], v[55:56], -v[59:60]
	v_add_f64 v[170:171], v[63:64], v[55:56]
	v_add_f64 v[55:56], v[55:56], v[59:60]
	v_fma_f64 v[0:1], v[84:85], -0.5, v[0:1]
	v_add_f64 v[94:95], v[72:73], v[88:89]
	v_add_f64 v[70:71], v[70:71], -v[86:87]
	v_fma_f64 v[42:43], v[65:66], -0.5, v[42:43]
	v_fma_f64 v[65:66], v[96:97], -0.5, v[72:73]
	v_add_f64 v[88:89], v[88:89], -v[8:9]
	v_add_f64 v[4:5], v[4:5], -v[16:17]
	v_add_f64 v[72:73], v[100:101], v[2:3]
	v_fma_f64 v[2:3], v[6:7], -0.5, v[118:119]
	v_add_f64 v[6:7], v[102:103], v[16:17]
	v_fma_f64 v[16:17], v[104:105], -0.5, v[74:75]
	v_add_f64 v[12:13], v[12:13], -v[24:25]
	v_add_f64 v[74:75], v[108:109], v[10:11]
	v_fma_f64 v[10:11], v[14:15], -0.5, v[120:121]
	v_add_f64 v[14:15], v[110:111], v[24:25]
	v_fma_f64 v[24:25], v[112:113], -0.5, v[80:81]
	;; [unrolled: 5-line block ×3, first 2 shown]
	v_add_f64 v[32:33], v[32:33], -v[36:37]
	v_add_f64 v[82:83], v[134:135], v[30:31]
	v_add_f64 v[30:31], v[140:141], v[36:37]
	v_fma_f64 v[36:37], v[142:143], -0.5, v[76:77]
	v_add_f64 v[40:41], v[40:41], -v[48:49]
	v_add_f64 v[76:77], v[146:147], v[38:39]
	v_add_f64 v[38:39], v[148:149], v[48:49]
	v_fma_f64 v[48:49], v[158:159], -0.5, v[78:79]
	v_add_f64 v[164:165], v[68:69], v[53:54]
	v_fma_f64 v[67:68], v[166:167], -0.5, v[68:69]
	v_add_f64 v[61:62], v[61:62], v[86:87]
	v_fma_f64 v[26:27], v[26:27], -0.5, v[132:133]
	v_fma_f64 v[34:35], v[34:35], -0.5, v[154:155]
	v_fma_f64 v[46:47], v[46:47], -0.5, v[156:157]
	;; [unrolled: 1-line block ×3, first 2 shown]
	v_fma_f64 v[63:64], v[90:91], s[0:1], v[0:1]
	v_add_f64 v[8:9], v[94:95], v[8:9]
	v_fma_f64 v[0:1], v[90:91], s[4:5], v[0:1]
	v_fma_f64 v[78:79], v[70:71], s[4:5], v[42:43]
	;; [unrolled: 1-line block ×9, first 2 shown]
	v_add_f64 v[84:85], v[92:93], v[116:117]
	v_fma_f64 v[90:91], v[4:5], s[4:5], v[10:11]
	v_fma_f64 v[92:93], v[4:5], s[0:1], v[10:11]
	;; [unrolled: 1-line block ×12, first 2 shown]
	v_add_f64 v[53:54], v[53:54], -v[57:58]
	v_add_f64 v[57:58], v[164:165], v[57:58]
	v_fma_f64 v[100:101], v[168:169], s[0:1], v[67:68]
	v_fma_f64 v[67:68], v[168:169], s[4:5], v[67:68]
	;; [unrolled: 1-line block ×8, first 2 shown]
	ds_write2_b64 v151, v[61:62], v[63:64] offset1:17
	ds_write2_b64 v151, v[0:1], v[8:9] offset0:34 offset1:51
	ds_write2_b64 v151, v[42:43], v[65:66] offset0:68 offset1:85
	;; [unrolled: 1-line block ×3, first 2 shown]
	ds_write_b64 v44, v[16:17] offset:1088
	ds_write2_b64 v204, v[14:15], v[4:5] offset0:153 offset1:170
	ds_write_b64 v204, v[10:11] offset:1496
	ds_write2_b64 v137, v[22:23], v[12:13] offset0:204 offset1:221
	;; [unrolled: 2-line block ×5, first 2 shown]
	ds_write_b64 v203, v[67:68] offset:3128
	s_waitcnt lgkmcnt(0)
	s_barrier
	buffer_gl0_inv
	ds_read2_b64 v[12:15], v151 offset0:51 offset1:68
	ds_read2_b64 v[36:39], v151 offset0:85 offset1:102
	;; [unrolled: 1-line block ×11, first 2 shown]
	ds_read_b64 v[46:47], v150
	ds_read_b64 v[48:49], v151 offset:3128
	v_add_f64 v[51:52], v[162:163], v[51:52]
	v_add_f64 v[59:60], v[170:171], v[59:60]
	s_waitcnt lgkmcnt(0)
	s_barrier
	buffer_gl0_inv
	v_fma_f64 v[112:113], v[53:54], s[4:5], v[55:56]
	v_fma_f64 v[53:54], v[53:54], s[0:1], v[55:56]
	ds_write2_b64 v151, v[84:85], v[78:79] offset1:17
	ds_write2_b64 v151, v[69:70], v[72:73] offset0:34 offset1:51
	ds_write2_b64 v151, v[86:87], v[88:89] offset0:68 offset1:85
	;; [unrolled: 1-line block ×3, first 2 shown]
	ds_write_b64 v44, v[92:93] offset:1088
	ds_write2_b64 v204, v[80:81], v[94:95] offset0:153 offset1:170
	ds_write_b64 v204, v[96:97] offset:1496
	ds_write2_b64 v137, v[82:83], v[98:99] offset0:204 offset1:221
	;; [unrolled: 2-line block ×5, first 2 shown]
	ds_write_b64 v203, v[53:54] offset:3128
	s_waitcnt lgkmcnt(0)
	s_barrier
	buffer_gl0_inv
	s_and_saveexec_b32 s0, vcc_lo
	s_cbranch_execz .LBB0_18
; %bb.17:
	v_mul_u32_u24_e32 v44, 7, v50
	v_mul_u32_u24_e32 v79, 7, v136
	v_mul_hi_u32 v187, 0xa0a0a0a1, v198
	v_mov_b32_e32 v137, v45
	v_add_nc_u32_e32 v135, 0x400, v151
	v_lshlrev_b32_e32 v44, 4, v44
	v_lshlrev_b32_e32 v103, 4, v79
	s_mov_b32 s4, 0x667f3bcd
	v_lshlrev_b64 v[184:185], 4, v[136:137]
	s_mov_b32 s5, 0x3fe6a09e
	s_clause 0x6
	global_load_dwordx4 v[51:54], v44, s[8:9] offset:592
	global_load_dwordx4 v[55:58], v44, s[8:9] offset:560
	;; [unrolled: 1-line block ×7, first 2 shown]
	v_mad_u32_u24 v44, v50, 7, 0xffffff89
	s_clause 0x6
	global_load_dwordx4 v[79:82], v103, s[8:9] offset:592
	global_load_dwordx4 v[83:86], v103, s[8:9] offset:560
	;; [unrolled: 1-line block ×7, first 2 shown]
	v_mul_hi_u32 v50, 0xa0a0a0a1, v50
	s_mov_b32 s1, 0xbfe6a09e
	s_mov_b32 s0, s4
	v_lshlrev_b64 v[107:108], 4, v[44:45]
	v_add_nc_u32_e32 v44, 0x800, v151
	v_lshrrev_b32_e32 v50, 5, v50
	v_add_co_u32 v131, vcc_lo, s8, v107
	v_add_co_ci_u32_e32 v132, vcc_lo, s9, v108, vcc_lo
	v_add_co_u32 v186, vcc_lo, s2, v138
	s_clause 0x6
	global_load_dwordx4 v[107:110], v[131:132], off offset:560
	global_load_dwordx4 v[111:114], v[131:132], off offset:624
	global_load_dwordx4 v[115:118], v[131:132], off offset:592
	global_load_dwordx4 v[119:122], v[131:132], off offset:544
	global_load_dwordx4 v[123:126], v[131:132], off offset:608
	global_load_dwordx4 v[127:130], v[131:132], off offset:576
	global_load_dwordx4 v[131:134], v[131:132], off offset:640
	ds_read2_b64 v[140:143], v151 offset0:17 offset1:34
	ds_read2_b64 v[144:147], v151 offset0:221 offset1:238
	;; [unrolled: 1-line block ×7, first 2 shown]
	ds_read_b64 v[180:181], v151 offset:3128
	ds_read_b64 v[182:183], v150
	ds_read2_b64 v[148:151], v44 offset0:67 offset1:84
	ds_read2_b64 v[172:175], v44 offset0:33 offset1:50
	;; [unrolled: 1-line block ×4, first 2 shown]
	v_lshrrev_b32_e32 v44, 5, v187
	v_add_co_ci_u32_e32 v139, vcc_lo, s3, v139, vcc_lo
	v_add_co_u32 v184, vcc_lo, v186, v184
	v_mul_u32_u24_e32 v44, 0x165, v44
	v_add_co_ci_u32_e32 v185, vcc_lo, v139, v185, vcc_lo
	v_add_co_u32 v186, vcc_lo, 0x800, v184
	v_lshlrev_b64 v[188:189], 4, v[44:45]
	v_add_co_ci_u32_e32 v187, vcc_lo, 0, v185, vcc_lo
	v_add_co_u32 v190, vcc_lo, 0x1000, v184
	v_mul_u32_u24_e32 v44, 0x165, v50
	v_add_co_ci_u32_e32 v191, vcc_lo, 0, v185, vcc_lo
	v_add_co_u32 v188, vcc_lo, v184, v188
	v_add_co_ci_u32_e32 v189, vcc_lo, v185, v189, vcc_lo
	v_lshlrev_b64 v[44:45], 4, v[44:45]
	v_add_co_u32 v192, vcc_lo, 0x800, v188
	v_add_co_ci_u32_e32 v193, vcc_lo, 0, v189, vcc_lo
	v_add_co_u32 v194, vcc_lo, v184, v44
	v_add_co_ci_u32_e32 v195, vcc_lo, v185, v45, vcc_lo
	;; [unrolled: 2-line block ×5, first 2 shown]
	s_waitcnt vmcnt(20)
	v_mul_f64 v[44:45], v[18:19], v[53:54]
	s_waitcnt vmcnt(19) lgkmcnt(10)
	v_mul_f64 v[202:203], v[154:155], v[57:58]
	s_waitcnt vmcnt(18) lgkmcnt(3)
	v_mul_f64 v[204:205], v[150:151], v[61:62]
	s_waitcnt vmcnt(17)
	v_mul_f64 v[206:207], v[36:37], v[65:66]
	s_waitcnt vmcnt(16)
	;; [unrolled: 2-line block ×4, first 2 shown]
	v_mul_f64 v[212:213], v[160:161], v[77:78]
	v_mul_f64 v[73:74], v[48:49], v[73:74]
	;; [unrolled: 1-line block ×3, first 2 shown]
	s_waitcnt lgkmcnt(2)
	v_mul_f64 v[69:70], v[172:173], v[69:70]
	v_mul_f64 v[77:78], v[24:25], v[77:78]
	;; [unrolled: 1-line block ×5, first 2 shown]
	s_waitcnt vmcnt(13)
	v_mul_f64 v[214:215], v[26:27], v[81:82]
	s_waitcnt vmcnt(12)
	v_mul_f64 v[216:217], v[158:159], v[85:86]
	;; [unrolled: 2-line block ×4, first 2 shown]
	s_waitcnt vmcnt(9) lgkmcnt(1)
	v_mul_f64 v[222:223], v[135:136], v[97:98]
	s_waitcnt vmcnt(8)
	v_mul_f64 v[224:225], v[4:5], v[101:102]
	s_waitcnt vmcnt(7)
	v_mul_f64 v[226:227], v[8:9], v[105:106]
	v_mul_f64 v[93:94], v[12:13], v[93:94]
	v_mul_f64 v[97:98], v[20:21], v[97:98]
	v_mul_f64 v[101:102], v[168:169], v[101:102]
	s_waitcnt lgkmcnt(0)
	v_mul_f64 v[105:106], v[176:177], v[105:106]
	v_mul_f64 v[81:82], v[162:163], v[81:82]
	;; [unrolled: 1-line block ×4, first 2 shown]
	v_fma_f64 v[48:49], v[48:49], v[71:72], -v[210:211]
	v_fma_f64 v[71:72], v[71:72], v[180:181], v[73:74]
	s_waitcnt vmcnt(6)
	v_mul_f64 v[73:74], v[152:153], v[109:110]
	s_waitcnt vmcnt(5)
	v_mul_f64 v[180:181], v[148:149], v[113:114]
	;; [unrolled: 2-line block ×3, first 2 shown]
	v_fma_f64 v[156:157], v[156:157], v[63:64], v[206:207]
	v_fma_f64 v[36:37], v[36:37], v[63:64], -v[65:66]
	s_waitcnt vmcnt(3)
	v_mul_f64 v[63:64], v[166:167], v[121:122]
	s_waitcnt vmcnt(2)
	v_mul_f64 v[65:66], v[137:138], v[125:126]
	v_fma_f64 v[172:173], v[172:173], v[67:68], v[208:209]
	v_fma_f64 v[40:41], v[40:41], v[67:68], -v[69:70]
	s_waitcnt vmcnt(1)
	v_mul_f64 v[67:68], v[6:7], v[129:130]
	s_waitcnt vmcnt(0)
	v_mul_f64 v[69:70], v[10:11], v[133:134]
	v_fma_f64 v[24:25], v[24:25], v[75:76], -v[212:213]
	v_fma_f64 v[75:76], v[75:76], v[160:161], v[77:78]
	v_mul_f64 v[77:78], v[14:15], v[121:122]
	v_mul_f64 v[121:122], v[22:23], v[125:126]
	v_fma_f64 v[44:45], v[146:147], v[51:52], v[44:45]
	v_fma_f64 v[18:19], v[18:19], v[51:52], -v[53:54]
	v_mul_f64 v[50:51], v[170:171], v[129:130]
	v_mul_f64 v[52:53], v[178:179], v[133:134]
	v_fma_f64 v[30:31], v[30:31], v[55:56], -v[202:203]
	v_fma_f64 v[54:55], v[55:56], v[154:155], v[57:58]
	v_mul_f64 v[56:57], v[144:145], v[117:118]
	v_mul_f64 v[109:110], v[28:29], v[109:110]
	v_fma_f64 v[34:35], v[34:35], v[59:60], -v[204:205]
	v_fma_f64 v[58:59], v[59:60], v[150:151], v[61:62]
	v_mul_f64 v[60:61], v[32:33], v[113:114]
	v_fma_f64 v[113:114], v[162:163], v[79:80], v[214:215]
	v_fma_f64 v[38:39], v[38:39], v[83:84], -v[216:217]
	v_fma_f64 v[42:43], v[42:43], v[87:88], -v[218:219]
	;; [unrolled: 1-line block ×4, first 2 shown]
	v_fma_f64 v[117:118], v[168:169], v[99:100], v[224:225]
	v_fma_f64 v[125:126], v[176:177], v[103:104], v[226:227]
	;; [unrolled: 1-line block ×4, first 2 shown]
	v_fma_f64 v[4:5], v[4:5], v[99:100], -v[101:102]
	v_fma_f64 v[8:9], v[8:9], v[103:104], -v[105:106]
	;; [unrolled: 1-line block ×3, first 2 shown]
	v_fma_f64 v[79:80], v[83:84], v[158:159], v[85:86]
	v_fma_f64 v[81:82], v[87:88], v[174:175], v[89:90]
	v_fma_f64 v[28:29], v[28:29], v[107:108], -v[73:74]
	v_fma_f64 v[32:33], v[32:33], v[111:112], -v[180:181]
	v_fma_f64 v[73:74], v[144:145], v[115:116], v[210:211]
	v_fma_f64 v[14:15], v[14:15], v[119:120], -v[63:64]
	v_fma_f64 v[22:23], v[22:23], v[123:124], -v[65:66]
	v_fma_f64 v[62:63], v[170:171], v[127:128], v[67:68]
	v_fma_f64 v[64:65], v[178:179], v[131:132], v[69:70]
	;; [unrolled: 1-line block ×4, first 2 shown]
	v_fma_f64 v[6:7], v[6:7], v[127:128], -v[50:51]
	v_fma_f64 v[10:11], v[10:11], v[131:132], -v[52:53]
	;; [unrolled: 1-line block ×3, first 2 shown]
	v_fma_f64 v[50:51], v[107:108], v[152:153], v[109:110]
	v_fma_f64 v[52:53], v[111:112], v[148:149], v[60:61]
	v_add_f64 v[44:45], v[142:143], -v[44:45]
	v_add_f64 v[34:35], v[30:31], -v[34:35]
	;; [unrolled: 1-line block ×24, first 2 shown]
	v_add_f64 v[85:86], v[44:45], v[34:35]
	v_add_f64 v[87:88], v[56:57], v[48:49]
	v_fma_f64 v[98:99], v[142:143], 2.0, -v[44:45]
	v_add_f64 v[89:90], v[40:41], -v[60:61]
	v_fma_f64 v[24:25], v[24:25], 2.0, -v[48:49]
	v_add_f64 v[93:94], v[18:19], -v[58:59]
	v_fma_f64 v[54:55], v[54:55], 2.0, -v[58:59]
	v_fma_f64 v[48:49], v[2:3], 2.0, -v[18:19]
	;; [unrolled: 1-line block ×5, first 2 shown]
	v_add_f64 v[58:59], v[70:71], v[42:43]
	v_add_f64 v[60:61], v[20:21], -v[77:78]
	v_add_f64 v[74:75], v[83:84], v[8:9]
	v_fma_f64 v[102:103], v[182:183], 2.0, -v[70:71]
	v_fma_f64 v[79:80], v[79:80], 2.0, -v[81:82]
	;; [unrolled: 1-line block ×8, first 2 shown]
	v_add_f64 v[100:101], v[26:27], -v[81:82]
	v_add_f64 v[76:77], v[32:33], v[72:73]
	v_add_f64 v[91:92], v[68:69], v[10:11]
	v_fma_f64 v[106:107], v[140:141], 2.0, -v[72:73]
	v_fma_f64 v[50:51], v[50:51], 2.0, -v[52:53]
	;; [unrolled: 1-line block ×8, first 2 shown]
	v_add_f64 v[81:82], v[22:23], -v[64:65]
	v_add_f64 v[104:105], v[16:17], -v[52:53]
	v_fma_f64 v[36:37], v[36:37], 2.0, -v[40:41]
	v_fma_f64 v[52:53], v[87:88], s[4:5], v[85:86]
	v_fma_f64 v[62:63], v[89:90], s[4:5], v[93:94]
	v_add_f64 v[54:55], v[98:99], -v[54:55]
	v_add_f64 v[64:65], v[48:49], -v[2:3]
	;; [unrolled: 1-line block ×3, first 2 shown]
	v_fma_f64 v[108:109], v[44:45], 2.0, -v[85:86]
	v_fma_f64 v[56:57], v[56:57], 2.0, -v[87:88]
	v_add_f64 v[66:67], v[102:103], -v[79:80]
	v_add_f64 v[78:79], v[12:13], -v[4:5]
	v_fma_f64 v[112:113], v[70:71], 2.0, -v[58:59]
	v_fma_f64 v[70:71], v[20:21], 2.0, -v[60:61]
	v_add_f64 v[116:117], v[8:9], -v[38:39]
	v_add_f64 v[20:21], v[42:43], -v[46:47]
	v_fma_f64 v[83:84], v[83:84], 2.0, -v[74:75]
	v_fma_f64 v[114:115], v[26:27], 2.0, -v[100:101]
	v_add_f64 v[118:119], v[106:107], -v[50:51]
	v_add_f64 v[26:27], v[14:15], -v[6:7]
	v_add_f64 v[120:121], v[10:11], -v[0:1]
	v_add_f64 v[32:33], v[28:29], -v[32:33]
	v_fma_f64 v[72:73], v[72:73], 2.0, -v[76:77]
	v_fma_f64 v[68:69], v[68:69], 2.0, -v[91:92]
	;; [unrolled: 1-line block ×4, first 2 shown]
	v_add_f64 v[24:25], v[36:37], -v[24:25]
	v_fma_f64 v[40:41], v[40:41], 2.0, -v[89:90]
	v_fma_f64 v[110:111], v[18:19], 2.0, -v[93:94]
	v_fma_f64 v[18:19], v[74:75], s[4:5], v[58:59]
	v_fma_f64 v[44:45], v[60:61], s[4:5], v[100:101]
	;; [unrolled: 1-line block ×6, first 2 shown]
	v_add_f64 v[4:5], v[64:65], -v[34:35]
	v_fma_f64 v[38:39], v[56:57], s[0:1], v[108:109]
	v_fma_f64 v[87:88], v[98:99], 2.0, -v[54:55]
	v_fma_f64 v[34:35], v[30:31], 2.0, -v[34:35]
	;; [unrolled: 1-line block ×7, first 2 shown]
	v_fma_f64 v[48:49], v[83:84], s[0:1], v[112:113]
	v_fma_f64 v[50:51], v[70:71], s[0:1], v[114:115]
	v_fma_f64 v[106:107], v[106:107], 2.0, -v[118:119]
	v_fma_f64 v[28:29], v[28:29], 2.0, -v[32:33]
	;; [unrolled: 1-line block ×4, first 2 shown]
	v_fma_f64 v[62:63], v[68:69], s[0:1], v[72:73]
	v_fma_f64 v[128:129], v[46:47], s[0:1], v[122:123]
	v_fma_f64 v[130:131], v[36:37], 2.0, -v[24:25]
	v_fma_f64 v[132:133], v[40:41], s[0:1], v[110:111]
	v_add_f64 v[14:15], v[66:67], v[78:79]
	v_add_f64 v[12:13], v[116:117], -v[20:21]
	v_fma_f64 v[10:11], v[60:61], s[4:5], v[18:19]
	v_fma_f64 v[8:9], v[74:75], s[0:1], v[44:45]
	;; [unrolled: 1-line block ×4, first 2 shown]
	v_add_f64 v[22:23], v[118:119], v[26:27]
	v_add_f64 v[20:21], v[120:121], -v[32:33]
	v_fma_f64 v[30:31], v[40:41], s[4:5], v[38:39]
	v_add_f64 v[34:35], v[87:88], -v[34:35]
	v_add_f64 v[42:43], v[89:90], -v[42:43]
	;; [unrolled: 1-line block ×3, first 2 shown]
	v_fma_f64 v[38:39], v[70:71], s[4:5], v[48:49]
	v_fma_f64 v[36:37], v[83:84], s[0:1], v[50:51]
	v_add_f64 v[6:7], v[54:55], v[24:25]
	v_add_f64 v[50:51], v[106:107], -v[28:29]
	v_fma_f64 v[52:53], v[64:65], 2.0, -v[4:5]
	v_add_f64 v[48:49], v[124:125], -v[126:127]
	v_fma_f64 v[46:47], v[46:47], s[4:5], v[62:63]
	v_fma_f64 v[44:45], v[68:69], s[0:1], v[128:129]
	v_add_f64 v[32:33], v[98:99], -v[130:131]
	v_fma_f64 v[28:29], v[56:57], s[0:1], v[132:133]
	v_fma_f64 v[62:63], v[66:67], 2.0, -v[14:15]
	v_fma_f64 v[60:61], v[116:117], 2.0, -v[12:13]
	;; [unrolled: 1-line block ×16, first 2 shown]
	v_add_co_u32 v96, vcc_lo, 0x1000, v194
	v_fma_f64 v[92:93], v[124:125], 2.0, -v[48:49]
	v_fma_f64 v[90:91], v[72:73], 2.0, -v[46:47]
	;; [unrolled: 1-line block ×7, first 2 shown]
	v_add_co_ci_u32_e32 v97, vcc_lo, 0, v195, vcc_lo
	v_add_co_u32 v98, vcc_lo, 0x1800, v194
	v_add_co_ci_u32_e32 v99, vcc_lo, 0, v195, vcc_lo
	global_store_dwordx4 v[190:191], v[12:15], off offset:800
	global_store_dwordx4 v[190:191], v[8:11], off offset:1616
	;; [unrolled: 1-line block ×12, first 2 shown]
	global_store_dwordx4 v[184:185], v[84:87], off
	global_store_dwordx4 v[184:185], v[80:83], off offset:816
	global_store_dwordx4 v[188:189], v[92:95], off offset:272
	;; [unrolled: 1-line block ×11, first 2 shown]
.LBB0_18:
	s_endpgm
	.section	.rodata,"a",@progbits
	.p2align	6, 0x0
	.amdhsa_kernel fft_rtc_fwd_len408_factors_17_3_8_wgs_51_tpt_17_halfLds_dp_ip_CI_unitstride_sbrr_dirReg
		.amdhsa_group_segment_fixed_size 0
		.amdhsa_private_segment_fixed_size 0
		.amdhsa_kernarg_size 88
		.amdhsa_user_sgpr_count 6
		.amdhsa_user_sgpr_private_segment_buffer 1
		.amdhsa_user_sgpr_dispatch_ptr 0
		.amdhsa_user_sgpr_queue_ptr 0
		.amdhsa_user_sgpr_kernarg_segment_ptr 1
		.amdhsa_user_sgpr_dispatch_id 0
		.amdhsa_user_sgpr_flat_scratch_init 0
		.amdhsa_user_sgpr_private_segment_size 0
		.amdhsa_wavefront_size32 1
		.amdhsa_uses_dynamic_stack 0
		.amdhsa_system_sgpr_private_segment_wavefront_offset 0
		.amdhsa_system_sgpr_workgroup_id_x 1
		.amdhsa_system_sgpr_workgroup_id_y 0
		.amdhsa_system_sgpr_workgroup_id_z 0
		.amdhsa_system_sgpr_workgroup_info 0
		.amdhsa_system_vgpr_workitem_id 0
		.amdhsa_next_free_vgpr 231
		.amdhsa_next_free_sgpr 56
		.amdhsa_reserve_vcc 1
		.amdhsa_reserve_flat_scratch 0
		.amdhsa_float_round_mode_32 0
		.amdhsa_float_round_mode_16_64 0
		.amdhsa_float_denorm_mode_32 3
		.amdhsa_float_denorm_mode_16_64 3
		.amdhsa_dx10_clamp 1
		.amdhsa_ieee_mode 1
		.amdhsa_fp16_overflow 0
		.amdhsa_workgroup_processor_mode 1
		.amdhsa_memory_ordered 1
		.amdhsa_forward_progress 0
		.amdhsa_shared_vgpr_count 0
		.amdhsa_exception_fp_ieee_invalid_op 0
		.amdhsa_exception_fp_denorm_src 0
		.amdhsa_exception_fp_ieee_div_zero 0
		.amdhsa_exception_fp_ieee_overflow 0
		.amdhsa_exception_fp_ieee_underflow 0
		.amdhsa_exception_fp_ieee_inexact 0
		.amdhsa_exception_int_div_zero 0
	.end_amdhsa_kernel
	.text
.Lfunc_end0:
	.size	fft_rtc_fwd_len408_factors_17_3_8_wgs_51_tpt_17_halfLds_dp_ip_CI_unitstride_sbrr_dirReg, .Lfunc_end0-fft_rtc_fwd_len408_factors_17_3_8_wgs_51_tpt_17_halfLds_dp_ip_CI_unitstride_sbrr_dirReg
                                        ; -- End function
	.section	.AMDGPU.csdata,"",@progbits
; Kernel info:
; codeLenInByte = 19700
; NumSgprs: 58
; NumVgprs: 231
; ScratchSize: 0
; MemoryBound: 1
; FloatMode: 240
; IeeeMode: 1
; LDSByteSize: 0 bytes/workgroup (compile time only)
; SGPRBlocks: 7
; VGPRBlocks: 28
; NumSGPRsForWavesPerEU: 58
; NumVGPRsForWavesPerEU: 231
; Occupancy: 4
; WaveLimiterHint : 1
; COMPUTE_PGM_RSRC2:SCRATCH_EN: 0
; COMPUTE_PGM_RSRC2:USER_SGPR: 6
; COMPUTE_PGM_RSRC2:TRAP_HANDLER: 0
; COMPUTE_PGM_RSRC2:TGID_X_EN: 1
; COMPUTE_PGM_RSRC2:TGID_Y_EN: 0
; COMPUTE_PGM_RSRC2:TGID_Z_EN: 0
; COMPUTE_PGM_RSRC2:TIDIG_COMP_CNT: 0
	.text
	.p2alignl 6, 3214868480
	.fill 48, 4, 3214868480
	.type	__hip_cuid_dda4d5a44cc7a8b8,@object ; @__hip_cuid_dda4d5a44cc7a8b8
	.section	.bss,"aw",@nobits
	.globl	__hip_cuid_dda4d5a44cc7a8b8
__hip_cuid_dda4d5a44cc7a8b8:
	.byte	0                               ; 0x0
	.size	__hip_cuid_dda4d5a44cc7a8b8, 1

	.ident	"AMD clang version 19.0.0git (https://github.com/RadeonOpenCompute/llvm-project roc-6.4.0 25133 c7fe45cf4b819c5991fe208aaa96edf142730f1d)"
	.section	".note.GNU-stack","",@progbits
	.addrsig
	.addrsig_sym __hip_cuid_dda4d5a44cc7a8b8
	.amdgpu_metadata
---
amdhsa.kernels:
  - .args:
      - .actual_access:  read_only
        .address_space:  global
        .offset:         0
        .size:           8
        .value_kind:     global_buffer
      - .offset:         8
        .size:           8
        .value_kind:     by_value
      - .actual_access:  read_only
        .address_space:  global
        .offset:         16
        .size:           8
        .value_kind:     global_buffer
      - .actual_access:  read_only
        .address_space:  global
        .offset:         24
        .size:           8
        .value_kind:     global_buffer
      - .offset:         32
        .size:           8
        .value_kind:     by_value
      - .actual_access:  read_only
        .address_space:  global
        .offset:         40
        .size:           8
        .value_kind:     global_buffer
      - .actual_access:  read_only
        .address_space:  global
        .offset:         48
        .size:           8
        .value_kind:     global_buffer
      - .offset:         56
        .size:           4
        .value_kind:     by_value
      - .actual_access:  read_only
        .address_space:  global
        .offset:         64
        .size:           8
        .value_kind:     global_buffer
      - .actual_access:  read_only
        .address_space:  global
        .offset:         72
        .size:           8
        .value_kind:     global_buffer
      - .address_space:  global
        .offset:         80
        .size:           8
        .value_kind:     global_buffer
    .group_segment_fixed_size: 0
    .kernarg_segment_align: 8
    .kernarg_segment_size: 88
    .language:       OpenCL C
    .language_version:
      - 2
      - 0
    .max_flat_workgroup_size: 51
    .name:           fft_rtc_fwd_len408_factors_17_3_8_wgs_51_tpt_17_halfLds_dp_ip_CI_unitstride_sbrr_dirReg
    .private_segment_fixed_size: 0
    .sgpr_count:     58
    .sgpr_spill_count: 0
    .symbol:         fft_rtc_fwd_len408_factors_17_3_8_wgs_51_tpt_17_halfLds_dp_ip_CI_unitstride_sbrr_dirReg.kd
    .uniform_work_group_size: 1
    .uses_dynamic_stack: false
    .vgpr_count:     231
    .vgpr_spill_count: 0
    .wavefront_size: 32
    .workgroup_processor_mode: 1
amdhsa.target:   amdgcn-amd-amdhsa--gfx1030
amdhsa.version:
  - 1
  - 2
...

	.end_amdgpu_metadata
